;; amdgpu-corpus repo=ROCm/Tensile kind=harvested arch=n/a opt=n/a

/******************************************/
/* Function Prefix                        */
/******************************************/



/******************************************/
/* Begin Kernel                           */
/******************************************/

// Component.Signature.SignatureDefault
.amdgcn_target "amdgcn-amd-amdhsa--gfx942"
.text
.protected Cijk_Alik_Bjlk_DB_MT16x16x64_MI16x16x4x1_SN_1LDSB1_APM1_AF0EM1_AF1EM1_AMAS0_ASE_ASGT_ASLT033_12_ASM_ASAE01_ASCE01_ASEM1_BL1_BS1_CLR0_DTVA0_DTVB1_ETB_EPS1_ELFLR0_EMLL0_FSSC10_FL0_GLVWA1_GLVWB1_GRCGA1_GRPM1_GRVWn1_GSU16_GSUAMB_GLS0_IU1_K1_LBSPPA512_LBSPPB0_LPA1_LPB0_LRVW1_LWPMn1_MIAV1_MKFGSU256_NTA0_NTB0_NTC0_NTD0_NEPBS4_NLCA1_NLCB1_ONLL1_PGR2_PLR17_PKA0_SIA3_SLW1_SS1_SU0_SUM0_SUS0_SPO0_SRVW0_SSO0_SVW1_TSGRA0_TSGRB0_TT1_16_TLDS1_UMLDSA1_UMLDSB0_USFGROn1_VAW1_VSn1_VW1_VWB1_VFLRP0_WSGRA0_WSGRB0_WG16_4_1_WGM1
.globl Cijk_Alik_Bjlk_DB_MT16x16x64_MI16x16x4x1_SN_1LDSB1_APM1_AF0EM1_AF1EM1_AMAS0_ASE_ASGT_ASLT033_12_ASM_ASAE01_ASCE01_ASEM1_BL1_BS1_CLR0_DTVA0_DTVB1_ETB_EPS1_ELFLR0_EMLL0_FSSC10_FL0_GLVWA1_GLVWB1_GRCGA1_GRPM1_GRVWn1_GSU16_GSUAMB_GLS0_IU1_K1_LBSPPA512_LBSPPB0_LPA1_LPB0_LRVW1_LWPMn1_MIAV1_MKFGSU256_NTA0_NTB0_NTC0_NTD0_NEPBS4_NLCA1_NLCB1_ONLL1_PGR2_PLR17_PKA0_SIA3_SLW1_SS1_SU0_SUM0_SUS0_SPO0_SRVW0_SSO0_SVW1_TSGRA0_TSGRB0_TT1_16_TLDS1_UMLDSA1_UMLDSB0_USFGROn1_VAW1_VSn1_VW1_VWB1_VFLRP0_WSGRA0_WSGRB0_WG16_4_1_WGM1
.p2align 8
.type Cijk_Alik_Bjlk_DB_MT16x16x64_MI16x16x4x1_SN_1LDSB1_APM1_AF0EM1_AF1EM1_AMAS0_ASE_ASGT_ASLT033_12_ASM_ASAE01_ASCE01_ASEM1_BL1_BS1_CLR0_DTVA0_DTVB1_ETB_EPS1_ELFLR0_EMLL0_FSSC10_FL0_GLVWA1_GLVWB1_GRCGA1_GRPM1_GRVWn1_GSU16_GSUAMB_GLS0_IU1_K1_LBSPPA512_LBSPPB0_LPA1_LPB0_LRVW1_LWPMn1_MIAV1_MKFGSU256_NTA0_NTB0_NTC0_NTD0_NEPBS4_NLCA1_NLCB1_ONLL1_PGR2_PLR17_PKA0_SIA3_SLW1_SS1_SU0_SUM0_SUS0_SPO0_SRVW0_SSO0_SVW1_TSGRA0_TSGRB0_TT1_16_TLDS1_UMLDSA1_UMLDSB0_USFGROn1_VAW1_VSn1_VW1_VWB1_VFLRP0_WSGRA0_WSGRB0_WG16_4_1_WGM1,@function
.section .rodata,#alloc
.p2align 6
.amdhsa_kernel Cijk_Alik_Bjlk_DB_MT16x16x64_MI16x16x4x1_SN_1LDSB1_APM1_AF0EM1_AF1EM1_AMAS0_ASE_ASGT_ASLT033_12_ASM_ASAE01_ASCE01_ASEM1_BL1_BS1_CLR0_DTVA0_DTVB1_ETB_EPS1_ELFLR0_EMLL0_FSSC10_FL0_GLVWA1_GLVWB1_GRCGA1_GRPM1_GRVWn1_GSU16_GSUAMB_GLS0_IU1_K1_LBSPPA512_LBSPPB0_LPA1_LPB0_LRVW1_LWPMn1_MIAV1_MKFGSU256_NTA0_NTB0_NTC0_NTD0_NEPBS4_NLCA1_NLCB1_ONLL1_PGR2_PLR17_PKA0_SIA3_SLW1_SS1_SU0_SUM0_SUS0_SPO0_SRVW0_SSO0_SVW1_TSGRA0_TSGRB0_TT1_16_TLDS1_UMLDSA1_UMLDSB0_USFGROn1_VAW1_VSn1_VW1_VWB1_VFLRP0_WSGRA0_WSGRB0_WG16_4_1_WGM1
  .amdhsa_user_sgpr_kernarg_segment_ptr 1
  .amdhsa_user_sgpr_kernarg_preload_offset 0
  .amdhsa_user_sgpr_kernarg_preload_length 0
  .amdhsa_user_sgpr_count 2
  .amdhsa_accum_offset 256 // accvgpr offset
  .amdhsa_next_free_vgpr 256 // vgprs
  .amdhsa_next_free_sgpr 64 // sgprs
  .amdhsa_group_segment_fixed_size 8448 // lds bytes
  .amdhsa_private_segment_fixed_size 0
  .amdhsa_system_sgpr_workgroup_id_x 1
  .amdhsa_system_sgpr_workgroup_id_y 1
  .amdhsa_system_sgpr_workgroup_id_z 1
  .amdhsa_system_vgpr_workitem_id 0
  .amdhsa_float_denorm_mode_32 3
  .amdhsa_float_denorm_mode_16_64 3
.end_amdhsa_kernel
.text

/******************************************/
/* Optimizations and Config:              */
/******************************************/
/* ThreadTile= 4 x 1 */
/* SubGroup= 4 x 16 */
/* VectorWidthA=1 */
/* VectorWidthB=1 */
/* GlobalLoadVectorWidthA=1, GlobalLoadVectorWidthB=1 */
/* DirectToLdsA=False */
/* DirectToLdsB=False */
/* UseSgprForGRO=0 */
.amdgpu_metadata
---
amdhsa.version:
  - 1
  - 1
amdhsa.target: amdgcn-amd-amdhsa--gfx942
amdhsa.kernels:
  - .name: Cijk_Alik_Bjlk_DB_MT16x16x64_MI16x16x4x1_SN_1LDSB1_APM1_AF0EM1_AF1EM1_AMAS0_ASE_ASGT_ASLT033_12_ASM_ASAE01_ASCE01_ASEM1_BL1_BS1_CLR0_DTVA0_DTVB1_ETB_EPS1_ELFLR0_EMLL0_FSSC10_FL0_GLVWA1_GLVWB1_GRCGA1_GRPM1_GRVWn1_GSU16_GSUAMB_GLS0_IU1_K1_LBSPPA512_LBSPPB0_LPA1_LPB0_LRVW1_LWPMn1_MIAV1_MKFGSU256_NTA0_NTB0_NTC0_NTD0_NEPBS4_NLCA1_NLCB1_ONLL1_PGR2_PLR17_PKA0_SIA3_SLW1_SS1_SU0_SUM0_SUS0_SPO0_SRVW0_SSO0_SVW1_TSGRA0_TSGRB0_TT1_16_TLDS1_UMLDSA1_UMLDSB0_USFGROn1_VAW1_VSn1_VW1_VWB1_VFLRP0_WSGRA0_WSGRB0_WG16_4_1_WGM1
    .symbol: 'Cijk_Alik_Bjlk_DB_MT16x16x64_MI16x16x4x1_SN_1LDSB1_APM1_AF0EM1_AF1EM1_AMAS0_ASE_ASGT_ASLT033_12_ASM_ASAE01_ASCE01_ASEM1_BL1_BS1_CLR0_DTVA0_DTVB1_ETB_EPS1_ELFLR0_EMLL0_FSSC10_FL0_GLVWA1_GLVWB1_GRCGA1_GRPM1_GRVWn1_GSU16_GSUAMB_GLS0_IU1_K1_LBSPPA512_LBSPPB0_LPA1_LPB0_LRVW1_LWPMn1_MIAV1_MKFGSU256_NTA0_NTB0_NTC0_NTD0_NEPBS4_NLCA1_NLCB1_ONLL1_PGR2_PLR17_PKA0_SIA3_SLW1_SS1_SU0_SUM0_SUS0_SPO0_SRVW0_SSO0_SVW1_TSGRA0_TSGRB0_TT1_16_TLDS1_UMLDSA1_UMLDSB0_USFGROn1_VAW1_VSn1_VW1_VWB1_VFLRP0_WSGRA0_WSGRB0_WG16_4_1_WGM1.kd'
    .language:                   OpenCL C
    .language_version:
      - 2
      - 0
    .args:
      - .name:            Tensor2dSizeA
        .size:            8
        .offset:          0
        .value_kind:      by_value
        .value_type:      u64
      - .name:            Tensor2dSizeB
        .size:            8
        .offset:          8
        .value_kind:      by_value
        .value_type:      u64
      - .name:            AddressD
        .size:            8
        .offset:          16
        .value_kind:      by_value
        .value_type:      u64
      - .name:            AddressC
        .size:            8
        .offset:          24
        .value_kind:      by_value
        .value_type:      u64
      - .name:            AddressA
        .size:            8
        .offset:          32
        .value_kind:      by_value
        .value_type:      u64
      - .name:            AddressB
        .size:            8
        .offset:          40
        .value_kind:      by_value
        .value_type:      u64
      - .name:            Alpha
        .size:            8
        .offset:          48
        .value_kind:      by_value
        .value_type:      u64
      - .name:            Beta
        .size:            8
        .offset:          56
        .value_kind:      by_value
        .value_type:      u64
      - .name:            StridesD
        .size:            8
        .offset:          64
        .value_kind:      by_value
        .value_type:      u64
      - .name:            StridesC
        .size:            8
        .offset:          72
        .value_kind:      by_value
        .value_type:      u64
      - .name:            StridesA
        .size:            8
        .offset:          80
        .value_kind:      by_value
        .value_type:      u64
      - .name:            StridesB
        .size:            8
        .offset:          88
        .value_kind:      by_value
        .value_type:      u64
      - .name:            SizesFree
        .size:            12
        .offset:          96
        .value_kind:      by_value
        .value_type:      u96
      - .name:            SizesSum
        .size:            4
        .offset:          108
        .value_kind:      by_value
        .value_type:      u32
      - .name:            NumWorkGroups0
        .size:            4
        .offset:          112
        .value_kind:      by_value
        .value_type:      u32
      - .name:            NumWorkGroups1
        .size:            4
        .offset:          116
        .value_kind:      by_value
        .value_type:      u32
    .group_segment_fixed_size:   8448
    .kernarg_segment_align:      8
    .kernarg_segment_size:       120
    .max_flat_workgroup_size:    64
    .private_segment_fixed_size: 0
    .sgpr_count:                 64
    .sgpr_spill_count:           0
    .vgpr_count:                 256
    .vgpr_spill_count:           0
    .wavefront_size:             64
...
.end_amdgpu_metadata
Cijk_Alik_Bjlk_DB_MT16x16x64_MI16x16x4x1_SN_1LDSB1_APM1_AF0EM1_AF1EM1_AMAS0_ASE_ASGT_ASLT033_12_ASM_ASAE01_ASCE01_ASEM1_BL1_BS1_CLR0_DTVA0_DTVB1_ETB_EPS1_ELFLR0_EMLL0_FSSC10_FL0_GLVWA1_GLVWB1_GRCGA1_GRPM1_GRVWn1_GSU16_GSUAMB_GLS0_IU1_K1_LBSPPA512_LBSPPB0_LPA1_LPB0_LRVW1_LWPMn1_MIAV1_MKFGSU256_NTA0_NTB0_NTC0_NTD0_NEPBS4_NLCA1_NLCB1_ONLL1_PGR2_PLR17_PKA0_SIA3_SLW1_SS1_SU0_SUM0_SUS0_SPO0_SRVW0_SSO0_SVW1_TSGRA0_TSGRB0_TT1_16_TLDS1_UMLDSA1_UMLDSB0_USFGROn1_VAW1_VSn1_VW1_VWB1_VFLRP0_WSGRA0_WSGRB0_WG16_4_1_WGM1:

/******************************************/
/* Asm syntax workarounds                 */
/******************************************/
.macro _v_add_co_u32 dst:req, cc:req, src0:req, src1:req, dpp=
   v_add_co_u32 \dst, \cc, \src0, \src1 \dpp
.endm

.macro _v_add_u32 dst:req, src0:req, src1:req, dpp=
   v_add_u32 \dst, \src0, \src1 \dpp
.endm

.macro _v_add_i32 dst:req, src0:req, src1:req, dpp=
   v_add_i32 \dst, \src0, \src1 \dpp
.endm

.macro _v_addc_co_u32 dst:req, ccOut:req, src0:req, ccIn:req, src1:req, dpp=
   v_addc_co_u32 \dst, \ccOut, \src0, \ccIn, \src1 \dpp
.endm

.macro _v_sub_co_u32 dst:req, cc:req, src0:req, src1:req, dpp=
   v_sub_co_u32 \dst, \cc, \src0, \src1 \dpp
.endm

.macro _v_sub_u32 dst:req, src0:req, src1:req, dpp=
   v_sub_u32 \dst, \src0, \src1 \dpp
.endm

.macro _v_sub_i32 dst:req, src0:req, src1:req, dpp=
   v_sub_i32 \dst, \src0, \src1 \dpp
.endm

.macro _v_add_lshl_u32 dst:req, src0:req, src1:req, shiftCnt:req
    v_add_lshl_u32 \dst, \src0, \src1, \shiftCnt
.endm

.macro _v_lshl_add_u32 dst:req, src0:req, src1:req, shiftCnt:req
    v_lshl_add_u32 \dst, \src0, \src1, \shiftCnt
.endm

.macro _v_lshl_or_b32 dst:req, src0:req, shiftCnt:req, src1:req
    v_lshl_or_b32 \dst, \src0, \shiftCnt, \src1
.endm

.macro _v_dot2acc_f32_f16 dst, src0, src1
v_dot2c_f32_f16 \dst, \src0, \src1
.endm

.macro _v_cmpx_lt_i16 dst, src0, src1=
   v_cmpx_lt_i16 \dst, \src0, \src1 
.endm

.macro _v_cmpx_lt_i32 dst, src0, src1=
   v_cmpx_lt_i32 \dst, \src0, \src1 
.endm

.macro _v_cmpx_lt_i64 dst, src0, src1=
   v_cmpx_lt_i64 \dst, \src0, \src1 
.endm

.macro _v_cmpx_lt_u16 dst, src0, src1=
   v_cmpx_lt_u16 \dst, \src0, \src1 
.endm

.macro _v_cmpx_lt_u32 dst, src0, src1=
   v_cmpx_lt_u32 \dst, \src0, \src1 
.endm

.macro _v_cmpx_lt_u64 dst, src0, src1=
   v_cmpx_lt_u64 \dst, \src0, \src1 
.endm

.macro _v_cmpx_eq_i16 dst, src0, src1=
   v_cmpx_eq_i16 \dst, \src0, \src1 
.endm

.macro _v_cmpx_eq_i32 dst, src0, src1=
   v_cmpx_eq_i32 \dst, \src0, \src1 
.endm

.macro _v_cmpx_eq_i64 dst, src0, src1=
   v_cmpx_eq_i64 \dst, \src0, \src1 
.endm

.macro _v_cmpx_eq_u16 dst, src0, src1=
   v_cmpx_eq_u16 \dst, \src0, \src1 
.endm

.macro _v_cmpx_eq_u32 dst, src0, src1=
   v_cmpx_eq_u32 \dst, \src0, \src1 
.endm

.macro _v_cmpx_eq_u64 dst, src0, src1=
   v_cmpx_eq_u64 \dst, \src0, \src1 
.endm

.macro _v_cmpx_le_i16 dst, src0, src1=
   v_cmpx_le_i16 \dst, \src0, \src1 
.endm

.macro _v_cmpx_le_i32 dst, src0, src1=
   v_cmpx_le_i32 \dst, \src0, \src1 
.endm

.macro _v_cmpx_le_i64 dst, src0, src1=
   v_cmpx_le_i64 \dst, \src0, \src1 
.endm

.macro _v_cmpx_le_u16 dst, src0, src1=
   v_cmpx_le_u16 \dst, \src0, \src1 
.endm

.macro _v_cmpx_le_u32 dst, src0, src1=
   v_cmpx_le_u32 \dst, \src0, \src1 
.endm

.macro _v_cmpx_le_u64 dst, src0, src1=
   v_cmpx_le_u64 \dst, \src0, \src1 
.endm

.macro _v_cmpx_gt_i16 dst, src0, src1=
   v_cmpx_gt_i16 \dst, \src0, \src1 
.endm

.macro _v_cmpx_gt_i32 dst, src0, src1=
   v_cmpx_gt_i32 \dst, \src0, \src1 
.endm

.macro _v_cmpx_gt_i64 dst, src0, src1=
   v_cmpx_gt_i64 \dst, \src0, \src1 
.endm

.macro _v_cmpx_gt_u16 dst, src0, src1=
   v_cmpx_gt_u16 \dst, \src0, \src1 
.endm

.macro _v_cmpx_gt_u32 dst, src0, src1=
   v_cmpx_gt_u32 \dst, \src0, \src1 
.endm

.macro _v_cmpx_gt_u64 dst, src0, src1=
   v_cmpx_gt_u64 \dst, \src0, \src1 
.endm

.macro _v_cmpx_ne_i16 dst, src0, src1=
   v_cmpx_ne_i16 \dst, \src0, \src1 
.endm

.macro _v_cmpx_ne_i32 dst, src0, src1=
   v_cmpx_ne_i32 \dst, \src0, \src1 
.endm

.macro _v_cmpx_ne_i64 dst, src0, src1=
   v_cmpx_ne_i64 \dst, \src0, \src1 
.endm

.macro _v_cmpx_ne_u16 dst, src0, src1=
   v_cmpx_ne_u16 \dst, \src0, \src1 
.endm

.macro _v_cmpx_ne_u32 dst, src0, src1=
   v_cmpx_ne_u32 \dst, \src0, \src1 
.endm

.macro _v_cmpx_ne_u64 dst, src0, src1=
   v_cmpx_ne_u64 \dst, \src0, \src1 
.endm

.macro _v_cmpx_lg_i16 dst, src0, src1=
   v_cmpx_lg_i16 \dst, \src0, \src1 
.endm

.macro _v_cmpx_lg_i32 dst, src0, src1=
   v_cmpx_lg_i32 \dst, \src0, \src1 
.endm

.macro _v_cmpx_lg_i64 dst, src0, src1=
   v_cmpx_lg_i64 \dst, \src0, \src1 
.endm

.macro _v_cmpx_lg_u16 dst, src0, src1=
   v_cmpx_lg_u16 \dst, \src0, \src1 
.endm

.macro _v_cmpx_lg_u32 dst, src0, src1=
   v_cmpx_lg_u32 \dst, \src0, \src1 
.endm

.macro _v_cmpx_lg_u64 dst, src0, src1=
   v_cmpx_lg_u64 \dst, \src0, \src1 
.endm

.macro _v_cmpx_ge_i16 dst, src0, src1=
   v_cmpx_ge_i16 \dst, \src0, \src1 
.endm

.macro _v_cmpx_ge_i32 dst, src0, src1=
   v_cmpx_ge_i32 \dst, \src0, \src1 
.endm

.macro _v_cmpx_ge_i64 dst, src0, src1=
   v_cmpx_ge_i64 \dst, \src0, \src1 
.endm

.macro _v_cmpx_ge_u16 dst, src0, src1=
   v_cmpx_ge_u16 \dst, \src0, \src1 
.endm

.macro _v_cmpx_ge_u32 dst, src0, src1=
   v_cmpx_ge_u32 \dst, \src0, \src1 
.endm

.macro _v_cmpx_ge_u64 dst, src0, src1=
   v_cmpx_ge_u64 \dst, \src0, \src1 
.endm

.macro _v_cmpx_o_i16 dst, src0, src1=
   v_cmpx_o_i16 \dst, \src0, \src1 
.endm

.macro _v_cmpx_o_i32 dst, src0, src1=
   v_cmpx_o_i32 \dst, \src0, \src1 
.endm

.macro _v_cmpx_o_i64 dst, src0, src1=
   v_cmpx_o_i64 \dst, \src0, \src1 
.endm

.macro _v_cmpx_o_u16 dst, src0, src1=
   v_cmpx_o_u16 \dst, \src0, \src1 
.endm

.macro _v_cmpx_o_u32 dst, src0, src1=
   v_cmpx_o_u32 \dst, \src0, \src1 
.endm

.macro _v_cmpx_o_u64 dst, src0, src1=
   v_cmpx_o_u64 \dst, \src0, \src1 
.endm

.macro _v_cmpx_u_i16 dst, src0, src1=
   v_cmpx_u_i16 \dst, \src0, \src1 
.endm

.macro _v_cmpx_u_i32 dst, src0, src1=
   v_cmpx_u_i32 \dst, \src0, \src1 
.endm

.macro _v_cmpx_u_i64 dst, src0, src1=
   v_cmpx_u_i64 \dst, \src0, \src1 
.endm

.macro _v_cmpx_u_u16 dst, src0, src1=
   v_cmpx_u_u16 \dst, \src0, \src1 
.endm

.macro _v_cmpx_u_u32 dst, src0, src1=
   v_cmpx_u_u32 \dst, \src0, \src1 
.endm

.macro _v_cmpx_u_u64 dst, src0, src1=
   v_cmpx_u_u64 \dst, \src0, \src1 
.endm
.macro _v_mac_f32 c:req, a:req, b:req
    v_fmac_f32 \c, \a, \b
.endmacro

/* scale global load macros */
.macro _s_load_b32 dst base offset
    s_load_dword \dst \base \offset
.endm

.macro _s_load_b64 dst base offset
    s_load_dwordx2 \dst \base \offset
.endm

.macro _s_load_b128 dst base offset
    s_load_dwordx4 \dst \base \offset
.endm

.macro _s_load_b256 dst base offset
    s_load_dwordx8 \dst \base \offset
.endm

.macro _s_load_b512 dst base offset
    s_load_dwordx16 \dst \base \offset
.endm


/* ds operation macros */
.macro _ds_load_u8 dst src offset
    ds_read_u8 \dst \src \offset
.endm

.macro _ds_load_u8_d16_hi dst src offset
    ds_read_u8_d16_hi \dst \src \offset
.endm

.macro _ds_load_u16 dst src offset
    ds_read_u16 \dst \src \offset
.endm

.macro _ds_load_u16_d16_hi dst src offset
    ds_read_u16_d16_hi \dst \src \offset
.endm

.macro _ds_load_b32 dst src offset
    ds_read_b32 \dst \src \offset
.endm

.macro _ds_load_b64 dst src offset
    ds_read_b64 \dst \src \offset
.endm

.macro _ds_load_b128 dst src offset
    ds_read_b128 \dst \src \offset
.endm

.macro _ds_store_b8 dst src offset
    ds_write_b8 \dst \src \offset
.endm

.macro _ds_store_b8_d16_hi dst src offset
    ds_write_b8_d16_hi \dst \src \offset
.endm

.macro _ds_store_b16 dst src offset
    ds_write_b16 \dst \src \offset
.endm

.macro _ds_store_b16_d16_hi dst src offset
    ds_write_b16_d16_hi \dst \src \offset
.endm

.macro _ds_store_b32 dst src offset
    ds_write_b32 \dst \src \offset
.endm

.macro _ds_store_b64 dst src offset
    ds_write_b64 \dst \src \offset
.endm

.macro _ds_store_b128 dst src offset
    ds_write_b128 \dst \src \offset
.endm

.macro _ds_load2_b32 dst src offset1 offset2
    ds_read2_b32 \dst \src \offset1 \offset2
.endm

.macro _ds_load2_b64 dst src offset1 offset2
    ds_read2_b64 \dst \src \offset1 \offset2
.endm

.macro _ds_store2_b32 dst src offset1 offset2
    ds_write2_b32 \dst \src \offset1 \offset2
.endm

.macro _ds_store2_b64 dst src offset1 offset2
    ds_write2_b64 \dst \src \offset1 \offset2
.endm


/* buffer memory operation macros */
.macro _buffer_load_b32 dst voffset base soffset offen ioffset md0 md1 md2
    buffer_load_dword \dst \voffset \base \soffset \offen \ioffset \md0 \md1 \md2
.endm

.macro _buffer_load_b64 dst voffset base soffset offen ioffset md0 md1 md2
    buffer_load_dwordx2 \dst \voffset \base \soffset \offen \ioffset \md0 \md1 \md2
.endm

.macro _buffer_load_b96 dst voffset base soffset offen ioffset md0 md1 md2
    buffer_load_dwordx3 \dst \voffset \base \soffset \offen \ioffset \md0 \md1 \md2
.endm

.macro _buffer_load_b128 dst voffset base soffset offen ioffset md0 md1 md2
    buffer_load_dwordx4 \dst \voffset \base \soffset \offen \ioffset \md0 \md1 \md2
.endm

.macro _buffer_load_d16_b16 dst voffset base soffset offen ioffset md0 md1 md2
    buffer_load_short_d16 \dst \voffset \base \soffset \offen \ioffset \md0 \md1 \md2
.endm

.macro _buffer_load_d16_hi_b16 dst voffset base soffset offen ioffset md0 md1 md2
    buffer_load_short_d16_hi \dst \voffset \base \soffset \offen \ioffset \md0 \md1 \md2
.endm

.macro _buffer_load_d16_u8 dst voffset base soffset offen ioffset md0 md1 md2
    buffer_load_ubyte_d16 \dst \voffset \base \soffset \offen \ioffset \md0 \md1 \md2
.endm

.macro _buffer_load_d16_hi_u8 dst voffset base soffset offen ioffset md0 md1 md2
    buffer_load_ubyte_d16_hi \dst \voffset \base \soffset \offen \ioffset \md0 \md1 \md2
.endm

.macro _buffer_load_u16 dst voffset base soffset offen ioffset md0 md1 md2
    buffer_load_ushort \dst \voffset \base \soffset \offen \ioffset \md0 \md1 \md2
.endm

.macro _buffer_load_b32_dtl voffset base soffset offen ioffset md0 md1 md2
    buffer_load_dword \voffset \base \soffset \offen \ioffset \md0 \md1 \md2
.endm

.macro _buffer_load_b64_dtl voffset base soffset offen ioffset md0 md1 md2
    buffer_load_dwordx2 \voffset \base \soffset \offen \ioffset \md0 \md1 \md2
.endm

.macro _buffer_load_b128_dtl voffset base soffset offen ioffset md0 md1 md2
    buffer_load_dwordx4 \voffset \base \soffset \offen \ioffset \md0 \md1 \md2
.endm

.macro _buffer_load_u16_dtl voffset base soffset offen ioffset md0 md1 md2
    buffer_load_ushort \voffset \base \soffset \offen \ioffset \md0 \md1 \md2
.endm

.macro _buffer_store_b32 src voffset base soffset offen ioffset md0 md1 md2
    buffer_store_dword \src \voffset \base \soffset \offen \ioffset \md0 \md1 \md2
.endm

.macro _buffer_store_b64 src voffset base soffset offen ioffset md0 md1 md2
    buffer_store_dwordx2 \src \voffset \base \soffset \offen \ioffset \md0 \md1 \md2
.endm

.macro _buffer_store_b96 src voffset base soffset offen ioffset md0 md1 md2
    buffer_store_dwordx3 \src \voffset \base \soffset \offen \ioffset \md0 \md1 \md2
.endm

.macro _buffer_store_b128 src voffset base soffset offen ioffset md0 md1 md2
    buffer_store_dwordx4 \src \voffset \base \soffset \offen \ioffset \md0 \md1 \md2
.endm

.macro _buffer_store_b16 src voffset base soffset offen ioffset md0 md1 md2
    buffer_store_short \src \voffset \base \soffset \offen \ioffset \md0 \md1 \md2
.endm

.macro _buffer_store_d16_hi_b16 src voffset base soffset offen ioffset md0 md1 md2
    buffer_store_short_d16_hi \src \voffset \base \soffset \offen \ioffset \md0 \md1 \md2
.endm

.macro _buffer_store_b8 src voffset base soffset offen ioffset md0 md1 md2
    buffer_store_byte \src \voffset \base \soffset \offen \ioffset \md0 \md1 \md2
.endm

.macro _buffer_store_d16_hi_b8 src voffset base soffset offen ioffset md0 md1 md2
    buffer_store_byte_d16_hi \src \voffset \base \soffset \offen \ioffset \md0 \md1 \md2
.endm

.macro _buffer_atomic_cmpswap_b32 dst voffset base soffset offen ioffset md0 md1 md2
    buffer_atomic_cmpswap \dst \voffset \base \soffset \offen \ioffset \md0 \md1 \md2
.endm

.macro _buffer_atomic_cmpswap_b64 dst voffset base soffset offen ioffset md0 md1 md2
    buffer_atomic_cmpswap_x2 \dst \voffset \base \soffset \offen \ioffset \md0 \md1 \md2
.endm


/* buffer memory operation macros */
.macro _global_load_b32 dst base src ioffset md0 md1 md2
    global_load_dword \dst \base \src \ioffset \md0 \md1 \md2
.endm

.macro _global_load_b64 dst base src ioffset md0 md1 md2
    global_load_dwordx2 \dst \base \src \ioffset \md0 \md1 \md2
.endm

.macro _global_load_b96 dst base src ioffset md0 md1 md2
    global_load_dwordx3 \dst \base \src \ioffset \md0 \md1 \md2
.endm

.macro _global_load_b128 dst base src ioffset md0 md1 md2
    global_load_dwordx4 \dst \base \src \ioffset \md0 \md1 \md2
.endm

.macro _global_load_d16_b16 dst base src ioffset md0 md1 md2
    global_load_short_d16 \dst \base \src \ioffset \md0 \md1 \md2
.endm

.macro _global_load_d16_hi_b16 dst base src ioffset md0 md1 md2
    global_load_short_d16_hi \dst \base \src \ioffset \md0 \md1 \md2
.endm

.macro _global_load_d16_u8 dst base src ioffset md0 md1 md2
    global_load_ubyte_d16 \dst \base \src \ioffset \md0 \md1 \md2
.endm

.macro _global_load_d16_hi_u8 dst base src ioffset md0 md1 md2
    global_load_ubyte_d16_hi \dst \base \src \ioffset \md0 \md1 \md2
.endm

.macro _global_load_u16 dst base src ioffset md0 md1 md2
    global_load_ushort \dst \base \src \ioffset \md0 \md1 \md2
.endm

.macro _global_store_b32 base src src2 md0 md1 md2
    global_store_dword \base \src \src2 \md0 \md1 \md2
.endm

.macro _global_store_b64 base src src2 md0 md1 md2
    global_store_dwordx2 \base \src \src2 \md0 \md1 \md2
.endm

.macro _global_store_b96 base src src2 md0 md1 md2
    global_store_dwordx3 \base \src \src2 \md0 \md1 \md2
.endm

.macro _global_store_b128 base src src2 md0 md1 md2
    global_store_dwordx4 \base \src \src2 \md0 \md1 \md2
.endm

.macro _global_store_d16_b16 base src src2 md0 md1 md2
    global_store_short \base \src \src2 \md0 \md1 \md2
.endm

.macro _global_store_d16_hi_b16 base src src2 md0 md1 md2
    global_store_short_d16_hi \base \src \src2 \md0 \md1 \md2
.endm

.macro _global_store_d16_u8 base src src2 md0 md1 md2
    global_store_ubyte_d16 \base \src \src2 \md0 \md1 \md2
.endm

.macro _global_store_d16_hi_u8 base src src2 md0 md1 md2
    global_store_ubyte_d16_hi \base \src \src2 \md0 \md1 \md2
.endm

.macro _global_store_u16 base src src2 md0 md1 md2
    global_store_ushort \base \src \src2 \md0 \md1 \md2
.endm

.macro _global_atomic_cmpswap_b32 tmp base data src ioffset md
    global_atomic_cmpswap \tmp \base \data \src \ioffset \md
.endm

.macro _global_atomic_cmpswap_b64 tmp base data src ioffset md
    global_atomic_cmpswap_x2 \tmp \base \data \src \ioffset \md
.endm


/******************************************/
/* Magic div and mod functions            */
/******************************************/
.macro V_MAGIC_DIV dstIdx:req, dividend:req, magicNumber:req, magicShift:req, magicA:req
    v_mul_hi_u32 v[\dstIdx+1], \dividend, \magicNumber
    v_mul_lo_u32 v[\dstIdx+0], \dividend, \magicA
    _v_add_u32 v[\dstIdx+0], v[\dstIdx+0], v[\dstIdx+1]
    v_lshrrev_b32 v[\dstIdx+0], \magicShift, v[\dstIdx+0]
.endm

/******************************************/
/* VGPR Assignments                       */
/******************************************/
/* ValuC range: [0-8), serializedStore enabled */
.set vgprValuC, 0
/* ValuA/B   Xn=PLR buffer idx,  In=InnerUnroll idx */
.set vgprValuA_X0_I0, 8
.set vgprValuA_X1_I0, 10
.set vgprValuA_X2_I0, 12
.set vgprValuA_X3_I0, 14
.set vgprValuA_X4_I0, 16
.set vgprValuA_X5_I0, 18
.set vgprValuA_X6_I0, 20
.set vgprValuA_X7_I0, 22
.set vgprValuA_X8_I0, 24
.set vgprValuA_X9_I0, 26
.set vgprValuA_X10_I0, 28
.set vgprValuA_X11_I0, 30
.set vgprValuA_X12_I0, 32
.set vgprValuA_X13_I0, 34
.set vgprValuA_X14_I0, 36
.set vgprValuA_X15_I0, 38
.set vgprG2LA, 74
.set vgprG2LB, 106
.set vgprG2LB0, 106
.set vgprG2LB1, 138
.set vgprLocalWriteAddrA, 40
.set vgprGlobalReadOffsetA, 41
.set vgprGlobalReadOffsetB, 57
.set vgprLocalReadAddrA, 170
.set vgprSerial, 171
/* Num VGPR=256 */
/* Num AccVGPR=0 */

/******************************************/
/* SGPR Assignments                       */
/******************************************/
.set sgprKernArgAddress, 0 // (2)
.set sgprWorkGroup0, 2 // (1)
.set sgprWorkGroup1, 3 // (1)
.set sgprWorkGroup2, 4 // (1)
.set sgprGSUSumIdx, 5 // (2)
.set sgprLoopCounterL, 7 // (1)
.set sgprOrigLoopCounter, 8 // (1)
.set sgprSrdA, 12 // (4)
.set sgprSrdB, 16 // (4)
.set sgprSrdD, 20 // (4)
.set sgprSrdC, 24 // (4)
.set sgprTensor2dSizeA, 28 // (2)
.set sgprTensor2dSizeB, 30 // (2)
.set sgprAddressD, 32 // (2)
.set sgprAddressC, 34 // (2)
.set sgprAddressA, 36 // (2)
.set sgprAddressB, 38 // (2)
.set sgprAlpha, 40 // (2)
.set sgprBeta, 42 // (2)
.set sgprStridesD, 44 // (2)
.set sgprStridesC, 46 // (2)
.set sgprStridesA, 48 // (2)
.set sgprStridesB, 50 // (2)
.set sgprSizesFree, 52 // (3)
.set sgprSizesSum, 55 // (1)
.set sgprNumWorkGroups0, 56 // (1)
.set sgprNumWorkGroups1, 57 // (1)
.set sgprShadowLimitA, 0 // (2)
.set sgprShadowLimitB, 32 // (2)
.set sgprGlobalReadIncsA, 9 // (1)
.set sgprGlobalReadIncsB, 34 // (1)
/* max SGPR=64 */

/* Size Assignments */
.set sgprSizeI, sgprSizesFree+0
.set sgprSizeJ, sgprSizesFree+1
.set sgprSizeK, sgprSizesFree+2
.set sgprSizeL, sgprSizesSum+0

/* Stride Assignments */
.set constStrideD0I, 1
.set sgprStrideD1J, sgprStridesD+0
.set sgprStrideDK, sgprStridesD+1
.set constStrideC0I, 1
.set sgprStrideC1J, sgprStridesC+0
.set sgprStrideCK, sgprStridesC+1
.set constStrideAL, 1
.set sgprStrideA0I, sgprStridesA+0
.set sgprStrideAK, sgprStridesA+1
.set constStrideB1J, 1
.set sgprStrideBL, sgprStridesB+0
.set sgprStrideBK, sgprStridesB+1

.set MT0, 16
.set MT1, 16
.set DepthU, 64
.set GSU, 16
.set BpeA, 8
.set BpeALog2, 3
.set BpeB, 8
.set BpeBLog2, 3
/* Number of elements to shift-left SRD */
.set SrdShiftLeftA, 1
.set SrdShiftLeftB, 1
/* 2GB limit - set offsets to -1 to exceed this and clamp */
.set BufferLimitA, 0xffffffff
.set BufferLimitB, 0xffffffff
.set BufferOOB, 0xfffff000

/******************************************/
/* Bits 127:96 of SRD.                    */
/* hex: 0x00020000                        */
/* dst_sel_x (3b): 0                      */
/* dst_sel_y (3b): 0                      */
/* dst_sel_z (3b): 0                      */
/* dst_sel_w (3b): 0                      */
/* num_format (3b): 0                     */
/* data_format (4b): 4                    */
/* user_vm_enable (1b): 0                 */
/* user_vm_mode (1b): 0                   */
/* index_stride (2b): 0                   */
/* add_tid_enable (1b): 0                 */
/* _unusedA (3b): 0                       */
/* nv (1b): 0                             */
/* _unusedB (2b): 0                       */
/* type (2b): 0                           */
/******************************************/
.set Srd127_96, 0x00020000

/* Global Offset A */
.macro GLOBAL_OFFSET_A vgprAddr:req vgprOffsetL:req vgprOffset0I:req vgprTmp:req
v_mul_lo_u32 v[\vgprTmp+0], s[sgprStrideA0I], v[\vgprOffset0I] // mul d1 lower
_v_add_co_u32 v[\vgprAddr+0], vcc, v[\vgprOffsetL], v[\vgprTmp+0] // accumulate K lower
_v_add_u32 v[\vgprAddr+0], 0x1, v[\vgprAddr+0]     // add prepad for pointer shift
v_lshlrev_b32 v[\vgprAddr+0], 0x3, v[\vgprAddr+0]  // offset *= bytes/element
.endm

/* Global Offset B */
.macro GLOBAL_OFFSET_B vgprAddr:req vgprOffset1J:req vgprOffsetL:req vgprTmp:req
v_mul_lo_u32 v[\vgprTmp+0], s[sgprStrideBL], v[\vgprOffsetL] // mul d1 lower
_v_add_co_u32 v[\vgprAddr+0], vcc, v[\vgprOffset1J], v[\vgprTmp+0] // accumulate K lower
_v_add_u32 v[\vgprAddr+0], 0x1, v[\vgprAddr+0]     // add prepad for pointer shift
v_lshlrev_b32 v[\vgprAddr+0], 0x3, v[\vgprAddr+0]  // offset *= bytes/element
.endm

/******************************************/
/* Dynamic Scalar Divide: vQuotient=vDividend/vDivisor; vRemainder=vDividend%vDivisor; */
/******************************************/
.macro DYNAMIC_VECTOR_DIVIDE vQuotient vRemainder vDividend vDivisor vTmp0 vTmp1 sTmp
v_cvt_f32_u32 v[\vQuotient], v[\vDivisor]          // 
v_rcp_f32 v[\vQuotient], v[\vQuotient]             // 
v_mul_f32 v[\vQuotient], 0x4f800000, v[\vQuotient] // 
v_cvt_u32_f32 v[\vQuotient], v[\vQuotient]         // 
v_mul_lo_u32 v[\vRemainder], v[\vDivisor], v[\vQuotient] // 
v_mul_hi_u32 v[\vTmp0], v[\vDivisor], v[\vQuotient] // 
_v_sub_co_u32 v[\vTmp1], vcc, 0x0, v[\vRemainder]  // 
v_cmp_ne_i32 s[\sTmp:\sTmp+1], 0x0, v[\vTmp0]      // 
v_cndmask_b32 v[\vRemainder], v[\vTmp1], v[\vRemainder], s[\sTmp:\sTmp+1] // 
v_mul_hi_u32 v[\vRemainder], v[\vRemainder], v[\vQuotient] // 
_v_sub_co_u32 v[\vTmp0], vcc, v[\vQuotient], v[\vRemainder] // 
_v_add_co_u32 v[\vQuotient], vcc, v[\vQuotient], v[\vRemainder] // 
v_cndmask_b32 v[\vQuotient], v[\vQuotient], v[\vTmp0], s[\sTmp:\sTmp+1] // 
v_mul_hi_u32 v[\vQuotient], v[\vQuotient], v[\vDividend] // 
v_mul_lo_u32 v[\vRemainder], v[\vQuotient], v[\vDivisor] // 
_v_sub_co_u32 v[\vTmp0], vcc, v[\vDividend], v[\vRemainder] // 
v_cmp_ge_u32 s[\sTmp:\sTmp+1], v[\vDividend], v[\vRemainder] // 
_v_add_co_u32 v[\vRemainder], vcc, 0x1, v[\vQuotient] // 
_v_add_co_u32 v[\vTmp1], vcc, -1, v[\vQuotient]    // 
v_cmp_le_u32 vcc, v[\vDivisor], v[\vTmp0]          // 
s_and_b64 vcc, s[\sTmp:\sTmp+1], vcc               // 
v_cndmask_b32 v[\vQuotient], v[\vQuotient], v[\vRemainder], vcc // 
v_cndmask_b32 v[\vQuotient], v[\vTmp1], v[\vQuotient], s[\sTmp:\sTmp+1] // 
v_cmp_ne_i32 vcc, 0x0, v[\vDivisor]                // 
v_cndmask_b32 v[\vQuotient], -1, v[\vQuotient], vcc // final result
v_mul_lo_u32 v[\vRemainder], v[\vQuotient], v[\vDivisor] // 
_v_sub_co_u32 v[\vRemainder], vcc, v[\vDividend], v[\vRemainder] // final result
.endm


	;; [unrolled: 1-line block ×3, first 2 shown]
/******************************************/
/* Allocate Resources                     */
/******************************************/

Cijk_Alik_Bjlk_DB_MT16x16x64_MI16x16x4x1_SN_1LDSB1_APM1_AF0EM1_AF1EM1_AMAS0_ASE_ASGT_ASLT033_12_ASM_ASAE01_ASCE01_ASEM1_BL1_BS1_CLR0_DTVA0_DTVB1_ETB_EPS1_ELFLR0_EMLL0_FSSC10_FL0_GLVWA1_GLVWB1_GRCGA1_GRPM1_GRVWn1_GSU16_GSUAMB_GLS0_IU1_K1_LBSPPA512_LBSPPB0_LPA1_LPB0_LRVW1_LWPMn1_MIAV1_MKFGSU256_NTA0_NTB0_NTC0_NTD0_NEPBS4_NLCA1_NLCB1_ONLL1_PGR2_PLR17_PKA0_SIA3_SLW1_SS1_SU0_SUM0_SUS0_SPO0_SRVW0_SSO0_SVW1_TSGRA0_TSGRB0_TT1_16_TLDS1_UMLDSA1_UMLDSB0_USFGROn1_VAW1_VSn1_VW1_VWB1_VFLRP0_WSGRA0_WSGRB0_WG16_4_1_WGM1_preloaded: // Kernel start when preloading

/* Load Kernel Args */
_s_load_b512 s[28:43], s[sgprKernArgAddress:sgprKernArgAddress+1], 0x0 // 
_s_load_b256 s[44:51], s[sgprKernArgAddress:sgprKernArgAddress+1], 0x40 // 
_s_load_b128 s[52:55], s[sgprKernArgAddress:sgprKernArgAddress+1], 0x60 // 
_s_load_b64 s[56:57], s[sgprKernArgAddress:sgprKernArgAddress+1], 0x70 // 
s_mov_b32 m0, 0x2100                               // LDS clamp at 8448 bytes
v_mov_b32 v[vgprSerial], v0                        // thread serial id

/******************************************/
/* Local Read Addresses                   */
/******************************************/


/* local read addresses: tile assignments a/b */

/*lr0I*/
v_and_b32 v1, 63, v[vgprSerial]                    // 0. thread id in wave: wtid = tid % wavelength(64)
v_and_b32 v0, 15, v1                               // 1. N offset: nIdx = wtid % MI_N(16)
v_lshlrev_b32 v0, 0x6, v0                          // 1. N offset: nOffset = nIdx * nStride(64)
                                                   // 2. block offset: bnIdx = bnIdx % num1DBlocks(1) is 0. do nothing
                                                   // 4. apply VectorWidth: bnOffset = bnOffset * vw(1) (multiplier is 1, do nothing)
v_lshrrev_b32 v1, 4, v1                            // 5. K offset: kIdx = wtid / (MIN(16) * MIBB(1))
                                                   // 5. K offset: lrKOffset = kIdx * mStride(1) (multiplier is 1, do nothing)
_v_add_u32 v0, v1, v0                              // 6. offset in wave: lrOffset = bnOffset + lrKOffset


/* local read addresses: final offsets a */

v_lshlrev_b32 v[vgprLocalReadAddrA], 0x3, v0       // Final Offset: offset = (lro0)*bpe
v_lshrrev_b32 v0, 9, v[vgprLocalReadAddrA]         // Final Offset: padding 1 per block 512
v_lshlrev_b32 v0, 0x3, v0                          // Final Offset: padding 1 per block 512
_v_add_u32 v[vgprLocalReadAddrA], v0, v[vgprLocalReadAddrA] // Final Offset: add padding 1 per block 512


/* local read addresses: final offsets b */


	;; [unrolled: 1-line block ×3, first 2 shown]
/* local read addresses: declare addresses a */

/* N/A */


/* local read addresses: declare addresses b */


	;; [unrolled: 1-line block ×3, first 2 shown]
/* global read addresses: tile offset assignment a */

/* LVCA = 64 */
/* v0 = (local)groA-tile = serial/LVCA (note (wgA*MTA) will be added to SRD) */
/* v1 = groA-unroll = serial%LVCA */
v_lshrrev_b32 v0, 6, v[vgprSerial]                 // v0 = v[vgprSerial] / 64
v_and_b32 v1, 63, v[vgprSerial]                    // v1 = v[vgprSerial] % 64
/* gro-unroll *= glvw */
                                                   // v1 = v1 * 1 (multiplier is 1, do nothing)
v_mov_b32 v2, v1                                   // copy for GlobalSplitU


/* global read addresses: tile offset assignment b */

/* LVCB = 16 */
/* v3 = (local)groB-tile = serial%LVCB (note (wgB*MTB) will be added to SRD) */
/* v4 = groB-unroll = serial/LVCB */
v_and_b32 v4, 63, v[vgprSerial]                    // 0. thread id in wave: wtid = tid % wavelength(64)
v_and_b32 v3, 15, v4                               // 1. N offset: nIdx = wtid % MI_N(16)
                                                   // 1. N offset: nOffset = nIdx * nStride(1) (multiplier is 1, do nothing)
                                                   // 2. block offset: bnIdx = bnIdx % num1DBlocks(1) is 0. do nothing
                                                   // 4. apply VectorWidth: bnOffset = bnOffset * vw(1) (multiplier is 1, do nothing)
v_lshrrev_b32 v4, 4, v4                            // 5. K offset: kIdx = wtid / (MIN(16) * MIBB(1))
                                                   // v4 = v4 * 1 (multiplier is 1, do nothing)
/* gro-tile *= glvw */
                                                   // v3 = v3 * 1 (multiplier is 1, do nothing)
v_mov_b32 v5, v4                                   // copy for GlobalSplitU


/******************************************/
/* Local Write Addresses                  */
/******************************************/

/* lwaTileAssignmentA = v0 */

/* lwaTileAssignmentB = v3 */

/* lwaUnrollAssignmentA = v2 */

/* lwaUnrollAssignmentB = v5 */


/* local write addresses: first offset a */

v_mul_u32_u24 v[vgprLocalWriteAddrA], 0x40, v0     // lwAL**(DepthU_Compute + PAD)
_v_add_lshl_u32 v[vgprLocalWriteAddrA], v2, v[vgprLocalWriteAddrA], 0x3 // lwFOA = (lwAA + lwAL*(DepthU+PAD))*bpe
v_lshrrev_b32 v6, 9, v[vgprLocalWriteAddrA]        // padding 1 per block 512
v_lshlrev_b32 v6, 0x3, v6                          // padding 1 per block 512
_v_add_u32 v[vgprLocalWriteAddrA], v6, v[vgprLocalWriteAddrA] // add padding 1 per block 512


/* local write addresses: first offset b */


	;; [unrolled: 1-line block ×8, first 2 shown]
s_waitcnt lgkmcnt(0)                               // wait for 120 bytes of kern args
s_mov_b64 s[sgprSrdC+0:sgprSrdC+0+1], s[sgprAddressC+0:sgprAddressC+0+1] // copy addressC
s_mov_b64 s[sgprSrdD+0:sgprSrdD+0+1], s[sgprAddressD+0:sgprAddressD+0+1] // copy addressD
s_sub_u32 s[sgprSrdA+0], s[sgprAddressA+0], 8      // pre-pad to make room for possible pointer shift
s_subb_u32 s[sgprSrdA+1], s[sgprAddressA+1], 0     // pre-pad to make room for possible pointer shift
s_sub_u32 s[sgprSrdB+0], s[sgprAddressB+0], 8      // pre-pad to make room for possible pointer shift
s_subb_u32 s[sgprSrdB+1], s[sgprAddressB+1], 0     // pre-pad to make room for possible pointer shift

.set AddressD, UNDEF
.set AddressC, UNDEF
.set AddressA, UNDEF
.set AddressB, UNDEF

/* Short circuit condition if Alpha == 0, then sumDims=0 */
v_cmp_eq_f64 vcc, s[sgprAlpha:sgprAlpha+1], 0.0    // Alpha == 0.0 ?
s_cbranch_vccz label_AlphaNonZero                  // branch if Alpha != 0
s_mov_b32 s[sgprSizesSum+0], 0x0                   // Set summation dim=0 if Alpha == 0
label_AlphaNonZero:


	;; [unrolled: 1-line block ×3, first 2 shown]
/******************************************/
/* Begin setupNewTile, isPap=False           */
/******************************************/


/* global read addresses: work-group */

/* graWorkGroup mapping */
// GSU-not-WGMapRR :nwg1 = (size1J + MT1J - 1) / MT1J;
s_mov_b32 s38, s[sgprWorkGroup1]                   // copying for divisor
s_lshr_b32 s[sgprWorkGroup1], s38, 4               // s[sgprWorkGroup1] = s38 / 16
s_and_b32 s[sgprGSUSumIdx], 15, s38                // s[sgprGSUSumIdx] = s38 % 16


/* global read addresses: unroll assignment a */

/* v1 */


/* global read addresses: unroll assignment b */

/* v4 */


/* global read addresses: other free assignments */

/* s[sgprWorkGroup2] */


/* global read addresses: tile offsets a */

v_mov_b32 v6, v0                                   // groA0I_0
_v_add_co_u32 v7, vcc, 1, v6                       // groA0I_1 += LSPA
_v_add_co_u32 v8, vcc, 1, v7                       // groA0I_2 += LSPA
_v_add_co_u32 v9, vcc, 1, v8                       // groA0I_3 += LSPA
_v_add_co_u32 v10, vcc, 1, v9                      // groA0I_4 += LSPA
_v_add_co_u32 v11, vcc, 1, v10                     // groA0I_5 += LSPA
_v_add_co_u32 v12, vcc, 1, v11                     // groA0I_6 += LSPA
_v_add_co_u32 v13, vcc, 1, v12                     // groA0I_7 += LSPA
_v_add_co_u32 v14, vcc, 1, v13                     // groA0I_8 += LSPA
_v_add_co_u32 v15, vcc, 1, v14                     // groA0I_9 += LSPA
_v_add_co_u32 v16, vcc, 1, v15                     // groA0I_10 += LSPA
_v_add_co_u32 v17, vcc, 1, v16                     // groA0I_11 += LSPA
_v_add_co_u32 v18, vcc, 1, v17                     // groA0I_12 += LSPA
_v_add_co_u32 v19, vcc, 1, v18                     // groA0I_13 += LSPA
_v_add_co_u32 v20, vcc, 1, v19                     // groA0I_14 += LSPA
_v_add_co_u32 v21, vcc, 1, v20                     // groA0I_15 += LSPA


/* global read addresses: tile offsets b */

v_mov_b32 v22, v3                                  // groB1J_0


/* global read addresses: unroll offsets a */

v_mov_b32 v23, v1                                  // groAL_0


/* global read addresses: unroll offsets b */

v_mov_b32 v24, v4                                  // groBL_0
_v_add_co_u32 v25, vcc, 4, v24                     // groBL_1 + LSPB
_v_add_co_u32 v26, vcc, 4, v25                     // groBL_2 + LSPB
_v_add_co_u32 v27, vcc, 4, v26                     // groBL_3 + LSPB
_v_add_co_u32 v28, vcc, 4, v27                     // groBL_4 + LSPB
_v_add_co_u32 v29, vcc, 4, v28                     // groBL_5 + LSPB
_v_add_co_u32 v30, vcc, 4, v29                     // groBL_6 + LSPB
_v_add_co_u32 v31, vcc, 4, v30                     // groBL_7 + LSPB
_v_add_co_u32 v32, vcc, 4, v31                     // groBL_8 + LSPB
_v_add_co_u32 v33, vcc, 4, v32                     // groBL_9 + LSPB
_v_add_co_u32 v34, vcc, 4, v33                     // groBL_10 + LSPB
_v_add_co_u32 v35, vcc, 4, v34                     // groBL_11 + LSPB
_v_add_co_u32 v36, vcc, 4, v35                     // groBL_12 + LSPB
_v_add_co_u32 v37, vcc, 4, v36                     // groBL_13 + LSPB
_v_add_co_u32 v38, vcc, 4, v37                     // groBL_14 + LSPB
_v_add_co_u32 v39, vcc, 4, v38                     // groBL_15 + LSPB


/* global read addresses: branch a */


	;; [unrolled: 1-line block ×3, first 2 shown]
/* global read addresses: branch b */


	;; [unrolled: 1-line block ×3, first 2 shown]
/* global read addresses: final offsets a */

GLOBAL_OFFSET_A vgprGlobalReadOffsetA+0, 23,  6, 172 // gROA_0_0_0_0
GLOBAL_OFFSET_A vgprGlobalReadOffsetA+1, 23,  7, 172 // gROA_0_0_1_0
GLOBAL_OFFSET_A vgprGlobalReadOffsetA+2, 23,  8, 172 // gROA_0_0_2_0
GLOBAL_OFFSET_A vgprGlobalReadOffsetA+3, 23,  9, 172 // gROA_0_0_3_0
GLOBAL_OFFSET_A vgprGlobalReadOffsetA+4, 23, 10, 172 // gROA_0_0_4_0
GLOBAL_OFFSET_A vgprGlobalReadOffsetA+5, 23, 11, 172 // gROA_0_0_5_0
GLOBAL_OFFSET_A vgprGlobalReadOffsetA+6, 23, 12, 172 // gROA_0_0_6_0
GLOBAL_OFFSET_A vgprGlobalReadOffsetA+7, 23, 13, 172 // gROA_0_0_7_0
GLOBAL_OFFSET_A vgprGlobalReadOffsetA+8, 23, 14, 172 // gROA_0_0_8_0
GLOBAL_OFFSET_A vgprGlobalReadOffsetA+9, 23, 15, 172 // gROA_0_0_9_0
GLOBAL_OFFSET_A vgprGlobalReadOffsetA+10, 23, 16, 172 // gROA_0_0_10_0
GLOBAL_OFFSET_A vgprGlobalReadOffsetA+11, 23, 17, 172 // gROA_0_0_11_0
GLOBAL_OFFSET_A vgprGlobalReadOffsetA+12, 23, 18, 172 // gROA_0_0_12_0
GLOBAL_OFFSET_A vgprGlobalReadOffsetA+13, 23, 19, 172 // gROA_0_0_13_0
GLOBAL_OFFSET_A vgprGlobalReadOffsetA+14, 23, 20, 172 // gROA_0_0_14_0
GLOBAL_OFFSET_A vgprGlobalReadOffsetA+15, 23, 21, 172 // gROA_0_0_15_0


/* global read addresses: final offsets b */

GLOBAL_OFFSET_B vgprGlobalReadOffsetB+0, 22, 24, 6 // gROB_0_0_0_0
GLOBAL_OFFSET_B vgprGlobalReadOffsetB+1, 22, 25, 6 // gROB_0_0_1_0
GLOBAL_OFFSET_B vgprGlobalReadOffsetB+2, 22, 26, 6 // gROB_0_0_2_0
GLOBAL_OFFSET_B vgprGlobalReadOffsetB+3, 22, 27, 6 // gROB_0_0_3_0
GLOBAL_OFFSET_B vgprGlobalReadOffsetB+4, 22, 28, 6 // gROB_0_0_4_0
GLOBAL_OFFSET_B vgprGlobalReadOffsetB+5, 22, 29, 6 // gROB_0_0_5_0
GLOBAL_OFFSET_B vgprGlobalReadOffsetB+6, 22, 30, 6 // gROB_0_0_6_0
GLOBAL_OFFSET_B vgprGlobalReadOffsetB+7, 22, 31, 6 // gROB_0_0_7_0
GLOBAL_OFFSET_B vgprGlobalReadOffsetB+8, 22, 32, 6 // gROB_0_0_8_0
GLOBAL_OFFSET_B vgprGlobalReadOffsetB+9, 22, 33, 6 // gROB_0_0_9_0
GLOBAL_OFFSET_B vgprGlobalReadOffsetB+10, 22, 34, 6 // gROB_0_0_10_0
GLOBAL_OFFSET_B vgprGlobalReadOffsetB+11, 22, 35, 6 // gROB_0_0_11_0
GLOBAL_OFFSET_B vgprGlobalReadOffsetB+12, 22, 36, 6 // gROB_0_0_12_0
GLOBAL_OFFSET_B vgprGlobalReadOffsetB+13, 22, 37, 6 // gROB_0_0_13_0
GLOBAL_OFFSET_B vgprGlobalReadOffsetB+14, 22, 38, 6 // gROB_0_0_14_0
GLOBAL_OFFSET_B vgprGlobalReadOffsetB+15, 22, 39, 6 // gROB_0_0_15_0


/* global read addresses: addresses a */

/* max read offset = size[n] * stride[n-1] */
s_mul_hi_u32 s39, s[sgprWorkGroup0], 16            // WorkGroup[01] * MT
s_mul_i32 s38, s[sgprWorkGroup0], 16               // WorkGroup[01] * MT
s_mul_hi_u32 s39, s38, s[sgprStrideA0I]            // tlu=0, scaled tile-offset by stride
s_mul_i32 s38, s38, s[sgprStrideA0I]               // tlu=0, scaled tile-offset by stride
s_mul_hi_u32 s37, 64, s[sgprGSUSumIdx]             // gsuOffset = DepthU*bpe*GSUSumIdx
s_mul_i32 s36, 64, s[sgprGSUSumIdx]                // gsuOffset = DepthU*bpe*GSUSumIdx
s_add_u32 s38, s38, s36                            // accum GsuOffset term to tilestart
s_addc_u32 s39, s39, s37                           // accum GsuOffset term to tilestart
s_sub_u32 s[sgprShadowLimitA+0], s[sgprTensor2dSizeA], s38 // sub tileStart
s_subb_u32 s[sgprShadowLimitA+1], s[sgprTensor2dSizeA+1], s39 // sub tileStart
s_lshl_b64 s[sgprShadowLimitA:sgprShadowLimitA+1], s[sgprShadowLimitA:sgprShadowLimitA+1], 0x3 // Set limit to use bytes
s_add_u32 s[sgprShadowLimitA+0], s[sgprShadowLimitA+0], 8 // extend limit for pre-pad
s_addc_u32 s[sgprShadowLimitA+1], s[sgprShadowLimitA+1], 0 // extend limit for pre-pad
s_cmp_eq_u32 s[sgprShadowLimitA+1], 0              // are we within 2^32?
s_cselect_b32 s[sgprSrdA+2], s[sgprShadowLimitA+0], BufferLimitA // Move shadow to real if we are within 2^32
s_mul_hi_u32 s37, s[sgprStrideAK], s[sgprWorkGroup2] // Stride*WG
s_mul_i32 s36, s[sgprStrideAK], s[sgprWorkGroup2]  // Stride*WG
s_add_u32 s38, s38, s36                            // accum wg term to tilestart
s_addc_u32 s39, s39, s37                           // accum wg term to tilestart
s_lshl_b64 s[38:39], s[38:39], 0x3                 // tileStart *= BPE
s_add_u32 s[sgprSrdA+0], s[sgprSrdA+0], s38        // SRD base = Address+ tileStart0
s_addc_u32 s[sgprSrdA+1], s[sgprSrdA+1], s39       // SRD base = Address+ tileStart1
s_mov_b32 s[sgprSrdA+3], Srd127_96                 // Set bits 127_96 in SRD


/* global read addresses: addresses b */

/* max read offset = size[n] * stride[n-1] */
s_mul_hi_u32 s39, s[sgprWorkGroup1], 16            // WorkGroup[01] * MT
s_mul_i32 s38, s[sgprWorkGroup1], 16               // WorkGroup[01] * MT
s_mul_hi_u32 s37, 64, s[sgprGSUSumIdx]             // gsuOffset = DepthU*bpe*GSUSumIdx
s_mul_i32 s36, 64, s[sgprGSUSumIdx]                // gsuOffset = DepthU*bpe*GSUSumIdx
s_mul_hi_u32 s37, s36, s[sgprStrideBL]             // tlu=1, scaled unroll-offset by stride
s_mul_i32 s36, s36, s[sgprStrideBL]                // tlu=1, scaled unroll-offset by stride
s_add_u32 s38, s38, s36                            // accum GsuOffset term to tilestart
s_addc_u32 s39, s39, s37                           // accum GsuOffset term to tilestart
s_sub_u32 s[sgprShadowLimitB+0], s[sgprTensor2dSizeB], s38 // sub tileStart
s_subb_u32 s[sgprShadowLimitB+1], s[sgprTensor2dSizeB+1], s39 // sub tileStart
s_lshl_b64 s[sgprShadowLimitB:sgprShadowLimitB+1], s[sgprShadowLimitB:sgprShadowLimitB+1], 0x3 // Set limit to use bytes
s_add_u32 s[sgprShadowLimitB+0], s[sgprShadowLimitB+0], 8 // extend limit for pre-pad
s_addc_u32 s[sgprShadowLimitB+1], s[sgprShadowLimitB+1], 0 // extend limit for pre-pad
s_cmp_eq_u32 s[sgprShadowLimitB+1], 0              // are we within 2^32?
s_cselect_b32 s[sgprSrdB+2], s[sgprShadowLimitB+0], BufferLimitB // Move shadow to real if we are within 2^32
s_mul_hi_u32 s37, s[sgprStrideBK], s[sgprWorkGroup2] // Stride*WG
s_mul_i32 s36, s[sgprStrideBK], s[sgprWorkGroup2]  // Stride*WG
s_add_u32 s38, s38, s36                            // accum wg term to tilestart
s_addc_u32 s39, s39, s37                           // accum wg term to tilestart
s_lshl_b64 s[38:39], s[38:39], 0x3                 // tileStart *= BPE
s_add_u32 s[sgprSrdB+0], s[sgprSrdB+0], s38        // SRD base = Address+ tileStart0
s_addc_u32 s[sgprSrdB+1], s[sgprSrdB+1], s39       // SRD base = Address+ tileStart1
s_mov_b32 s[sgprSrdB+3], Srd127_96                 // Set bits 127_96 in SRD


/* global read addresses: increments a */

s_mov_b32 s[sgprGlobalReadIncsA+0], DepthU*BpeA*16 // incrA (unrollIdx)


/* global read addresses: increments b */

s_mul_i32 s[sgprGlobalReadIncsB+0], DepthU*BpeB*16, s[sgprStrideBL] // incrB unrollIdx)

/* declare loop num iterations */


s_lshr_b32 s[sgprLoopCounterL], s[sgprSizesSum+0], 6 // s[sgprLoopCounterL] = s[sgprSizesSum+0] / 64
s_mov_b32 s38, s[sgprLoopCounterL]                 // copy for divide IterGsu
s_lshr_b32 s[sgprLoopCounterL], s38, 4             // s[sgprLoopCounterL] = s38 / 16
s_and_b32 s[sgprGSUSumIdx+1], 15, s38              // s[sgprGSUSumIdx+1] = s38 % 16
s_add_u32 s36, 1, s[sgprLoopCounterL]              // tmp<-numIterMyWg+
s_cmp_lt_u32 s[sgprGSUSumIdx], s[sgprGSUSumIdx+1]  // gsuSumIdx < numIterPerWgRemainder
s_cmov_b32 s[sgprLoopCounterL], s36                // numIterMyWg++ if needed
s_mov_b32 s[sgprOrigLoopCounter], s[sgprLoopCounterL] // copy loop counter

/* local read addresses: init pointers a */


/* localReadInitPointers */

/* local read addresses: init pointers b */


	;; [unrolled: 1-line block ×3, first 2 shown]
/* prefetch: global -> local */

s_cmp_eq_u32 s[sgprLoopCounterL], 0                // at last iteration?
s_cbranch_scc1 ShadowInitStart_10                  // skip to ShadowInitStart iter b/c numIter==0


_buffer_load_b64 v[vgprG2LA+0:vgprG2LA+0+1], v[vgprGlobalReadOffsetA+0], s[sgprSrdA:sgprSrdA+3], 0, offen offset:0 // G -> Reg 0_0_0_0
_buffer_load_b64 v[vgprG2LA+2:vgprG2LA+2+1], v[vgprGlobalReadOffsetA+1], s[sgprSrdA:sgprSrdA+3], 0, offen offset:0 // G -> Reg 0_0_1_0
_buffer_load_b64 v[vgprG2LA+4:vgprG2LA+4+1], v[vgprGlobalReadOffsetA+2], s[sgprSrdA:sgprSrdA+3], 0, offen offset:0 // G -> Reg 0_0_2_0
_buffer_load_b64 v[vgprG2LA+6:vgprG2LA+6+1], v[vgprGlobalReadOffsetA+3], s[sgprSrdA:sgprSrdA+3], 0, offen offset:0 // G -> Reg 0_0_3_0
_buffer_load_b64 v[vgprG2LA+8:vgprG2LA+8+1], v[vgprGlobalReadOffsetA+4], s[sgprSrdA:sgprSrdA+3], 0, offen offset:0 // G -> Reg 0_0_4_0
_buffer_load_b64 v[vgprG2LA+10:vgprG2LA+10+1], v[vgprGlobalReadOffsetA+5], s[sgprSrdA:sgprSrdA+3], 0, offen offset:0 // G -> Reg 0_0_5_0
_buffer_load_b64 v[vgprG2LA+12:vgprG2LA+12+1], v[vgprGlobalReadOffsetA+6], s[sgprSrdA:sgprSrdA+3], 0, offen offset:0 // G -> Reg 0_0_6_0
_buffer_load_b64 v[vgprG2LA+14:vgprG2LA+14+1], v[vgprGlobalReadOffsetA+7], s[sgprSrdA:sgprSrdA+3], 0, offen offset:0 // G -> Reg 0_0_7_0
_buffer_load_b64 v[vgprG2LA+16:vgprG2LA+16+1], v[vgprGlobalReadOffsetA+8], s[sgprSrdA:sgprSrdA+3], 0, offen offset:0 // G -> Reg 0_0_8_0
_buffer_load_b64 v[vgprG2LA+18:vgprG2LA+18+1], v[vgprGlobalReadOffsetA+9], s[sgprSrdA:sgprSrdA+3], 0, offen offset:0 // G -> Reg 0_0_9_0
_buffer_load_b64 v[vgprG2LA+20:vgprG2LA+20+1], v[vgprGlobalReadOffsetA+10], s[sgprSrdA:sgprSrdA+3], 0, offen offset:0 // G -> Reg 0_0_10_0
_buffer_load_b64 v[vgprG2LA+22:vgprG2LA+22+1], v[vgprGlobalReadOffsetA+11], s[sgprSrdA:sgprSrdA+3], 0, offen offset:0 // G -> Reg 0_0_11_0
_buffer_load_b64 v[vgprG2LA+24:vgprG2LA+24+1], v[vgprGlobalReadOffsetA+12], s[sgprSrdA:sgprSrdA+3], 0, offen offset:0 // G -> Reg 0_0_12_0
_buffer_load_b64 v[vgprG2LA+26:vgprG2LA+26+1], v[vgprGlobalReadOffsetA+13], s[sgprSrdA:sgprSrdA+3], 0, offen offset:0 // G -> Reg 0_0_13_0
_buffer_load_b64 v[vgprG2LA+28:vgprG2LA+28+1], v[vgprGlobalReadOffsetA+14], s[sgprSrdA:sgprSrdA+3], 0, offen offset:0 // G -> Reg 0_0_14_0
_buffer_load_b64 v[vgprG2LA+30:vgprG2LA+30+1], v[vgprGlobalReadOffsetA+15], s[sgprSrdA:sgprSrdA+3], 0, offen offset:0 // G -> Reg 0_0_15_0


_buffer_load_b64 v[vgprG2LB0+0:vgprG2LB0+0+1], v[vgprGlobalReadOffsetB+0], s[sgprSrdB:sgprSrdB+3], 0, offen offset:0 // G -> Reg 0_0_0_0
_buffer_load_b64 v[vgprG2LB0+2:vgprG2LB0+2+1], v[vgprGlobalReadOffsetB+1], s[sgprSrdB:sgprSrdB+3], 0, offen offset:0 // G -> Reg 0_0_1_0
_buffer_load_b64 v[vgprG2LB0+4:vgprG2LB0+4+1], v[vgprGlobalReadOffsetB+2], s[sgprSrdB:sgprSrdB+3], 0, offen offset:0 // G -> Reg 0_0_2_0
_buffer_load_b64 v[vgprG2LB0+6:vgprG2LB0+6+1], v[vgprGlobalReadOffsetB+3], s[sgprSrdB:sgprSrdB+3], 0, offen offset:0 // G -> Reg 0_0_3_0
_buffer_load_b64 v[vgprG2LB0+8:vgprG2LB0+8+1], v[vgprGlobalReadOffsetB+4], s[sgprSrdB:sgprSrdB+3], 0, offen offset:0 // G -> Reg 0_0_4_0
_buffer_load_b64 v[vgprG2LB0+10:vgprG2LB0+10+1], v[vgprGlobalReadOffsetB+5], s[sgprSrdB:sgprSrdB+3], 0, offen offset:0 // G -> Reg 0_0_5_0
_buffer_load_b64 v[vgprG2LB0+12:vgprG2LB0+12+1], v[vgprGlobalReadOffsetB+6], s[sgprSrdB:sgprSrdB+3], 0, offen offset:0 // G -> Reg 0_0_6_0
_buffer_load_b64 v[vgprG2LB0+14:vgprG2LB0+14+1], v[vgprGlobalReadOffsetB+7], s[sgprSrdB:sgprSrdB+3], 0, offen offset:0 // G -> Reg 0_0_7_0
_buffer_load_b64 v[vgprG2LB0+16:vgprG2LB0+16+1], v[vgprGlobalReadOffsetB+8], s[sgprSrdB:sgprSrdB+3], 0, offen offset:0 // G -> Reg 0_0_8_0
_buffer_load_b64 v[vgprG2LB0+18:vgprG2LB0+18+1], v[vgprGlobalReadOffsetB+9], s[sgprSrdB:sgprSrdB+3], 0, offen offset:0 // G -> Reg 0_0_9_0
_buffer_load_b64 v[vgprG2LB0+20:vgprG2LB0+20+1], v[vgprGlobalReadOffsetB+10], s[sgprSrdB:sgprSrdB+3], 0, offen offset:0 // G -> Reg 0_0_10_0
_buffer_load_b64 v[vgprG2LB0+22:vgprG2LB0+22+1], v[vgprGlobalReadOffsetB+11], s[sgprSrdB:sgprSrdB+3], 0, offen offset:0 // G -> Reg 0_0_11_0
_buffer_load_b64 v[vgprG2LB0+24:vgprG2LB0+24+1], v[vgprGlobalReadOffsetB+12], s[sgprSrdB:sgprSrdB+3], 0, offen offset:0 // G -> Reg 0_0_12_0
_buffer_load_b64 v[vgprG2LB0+26:vgprG2LB0+26+1], v[vgprGlobalReadOffsetB+13], s[sgprSrdB:sgprSrdB+3], 0, offen offset:0 // G -> Reg 0_0_13_0
_buffer_load_b64 v[vgprG2LB0+28:vgprG2LB0+28+1], v[vgprGlobalReadOffsetB+14], s[sgprSrdB:sgprSrdB+3], 0, offen offset:0 // G -> Reg 0_0_14_0
_buffer_load_b64 v[vgprG2LB0+30:vgprG2LB0+30+1], v[vgprGlobalReadOffsetB+15], s[sgprSrdB:sgprSrdB+3], 0, offen offset:0 // G -> Reg 0_0_15_0


/* global read inc A loopL */
s_add_u32 s[sgprSrdA+0], s[sgprSrdA+0], s[sgprGlobalReadIncsA+0] // gra SRD += inc(lower)
s_addc_u32  s[sgprSrdA+1], s[sgprSrdA+1], 0        // gra SRD += inc(upper)
s_sub_u32 s[sgprShadowLimitA+0], s[sgprShadowLimitA+0], s[sgprGlobalReadIncsA+0] // limit -= inc)
s_subb_u32 s[sgprShadowLimitA+1], s[sgprShadowLimitA+1], 0 // limit -= inc)
s_cmp_eq_u32 s[sgprShadowLimitA+1], 0              // are we within 2^32?
s_cmov_b32 s[sgprSrdA+2], s[sgprShadowLimitA+0]    // Move shadow to real if we are within 2^32

/* global read inc B loopL */
s_add_u32 s[sgprSrdB+0], s[sgprSrdB+0], s[sgprGlobalReadIncsB+0] // gra SRD += inc(lower)
s_addc_u32  s[sgprSrdB+1], s[sgprSrdB+1], 0        // gra SRD += inc(upper)
s_sub_u32 s[sgprShadowLimitB+0], s[sgprShadowLimitB+0], s[sgprGlobalReadIncsB+0] // limit -= inc)
s_subb_u32 s[sgprShadowLimitB+1], s[sgprShadowLimitB+1], 0 // limit -= inc)
s_cmp_eq_u32 s[sgprShadowLimitB+1], 0              // are we within 2^32?
s_cmov_b32 s[sgprSrdB+2], s[sgprShadowLimitB+0]    // Move shadow to real if we are within 2^32


/******************************************/
/* End setupNewTile, isPap=False             */
/******************************************/

ShadowInitStart_10: // 

s_mov_b32 s[sgprSrdD+2], BufferOOB                 // 
s_mov_b32 s[sgprSrdD+3], Srd127_96                 // Set bits 127_96 in post-loop SRD

s_mov_b32 s[sgprSrdC+2], BufferOOB                 // 
s_mov_b32 s[sgprSrdC+3], Srd127_96                 // Set bits 127_96 in post-loop SRD


s_mul_i32 s38, MT1, s[sgprWorkGroup1]              // <- wg1*MT1
s_mul_hi_u32 s37, s38, s[sgprStrideC1J]            // CScale s38 by Stride
s_mul_i32 s36, s38, s[sgprStrideC1J]               // CScale s38 by Stride
s_lshl_b64 s[36:37], s[36:37], 3                   // scale by bpe
s_add_u32 s[sgprSrdC+0], s[sgprSrdC+0], s36        // add lo to SRD
s_addc_u32 s[sgprSrdC+1], s[sgprSrdC+1], s37       // add hi to SRD
s_mul_hi_u32 s37, s38, s[sgprStrideD1J]            // Scale s38 by Stride
s_mul_i32 s36, s38, s[sgprStrideD1J]               // Scale s38 by Stride
s_lshl_b64 s[36:37], s[36:37], 3                   // scale by bpe
s_add_u32 s[sgprSrdD+0], s[sgprSrdD+0], s36        // add lo to SRD
s_addc_u32 s[sgprSrdD+1], s[sgprSrdD+1], s37       // add hi to SRD

s_mul_hi_u32 s37, s[sgprWorkGroup2], s[sgprStrideCK] // CScale s[sgprWorkGroup2] by Stride
s_mul_i32 s36, s[sgprWorkGroup2], s[sgprStrideCK]  // CScale s[sgprWorkGroup2] by Stride
s_lshl_b64 s[36:37], s[36:37], 3                   // scale by bpe
s_add_u32 s[sgprSrdC+0], s[sgprSrdC+0], s36        // add lo to SRD
s_addc_u32 s[sgprSrdC+1], s[sgprSrdC+1], s37       // add hi to SRD
s_mul_hi_u32 s37, s[sgprWorkGroup2], s[sgprStrideDK] // Scale s[sgprWorkGroup2] by Stride
s_mul_i32 s36, s[sgprWorkGroup2], s[sgprStrideDK]  // Scale s[sgprWorkGroup2] by Stride
s_lshl_b64 s[36:37], s[36:37], 3                   // scale by bpe
s_add_u32 s[sgprSrdD+0], s[sgprSrdD+0], s36        // add lo to SRD
s_addc_u32 s[sgprSrdD+1], s[sgprSrdD+1], s37       // add hi to SRD

// GSU Output Buffer offset: Free0 + (Free1-1)*StrideC1J + (Free2-1)*StrideCK * GSUIdx * bpe
s_mul_hi_u32 s11, s[sgprSizesFree+0], s[sgprGSUSumIdx] // Free0
s_mul_i32 s10, s[sgprSizesFree+0], s[sgprGSUSumIdx] // Free0
s_sub_u32 s35, s[sgprSizesFree+1], 1               // Free1
s_mul_i32 s35, s35, s[sgprGSUSumIdx]               // Free1
s_mul_hi_u32 s59, s35, s[sgprStrideC1J]            // Free1
s_mul_i32 s58, s35, s[sgprStrideC1J]               // Free1
s_add_u32 s10, s10, s58                            // Free1
s_addc_u32 s11, s11, s59                           // Free1
s_sub_u32 s35, s[sgprSizesFree+2], 1               // Free2
s_mul_i32 s35, s35, s[sgprGSUSumIdx]               // Free2
s_mul_hi_u32 s59, s35, s[sgprStrideCK]             // Free2
s_mul_i32 s58, s35, s[sgprStrideCK]                // Free2
s_add_u32 s10, s10, s58                            // Free2
s_addc_u32 s11, s11, s59                           // Free2
s_lshl_b64 s[10:11], s[10:11], 3                   // scale by bpe
s_add_u32 s[sgprSrdD+0], s[sgprSrdD+0], s10        // add lo GSU offset to SRD
s_addc_u32 s[sgprSrdD+1], s[sgprSrdD+1], s11       // add hi GSU offset to SRD


/* initC: remove C-tile 0-8 from pool */

/* initC: remove AB-tile 8-40 from pool */
v_mov_b64 v[vgprValuC+0:vgprValuC+0+1], 0x0        // initC
v_mov_b64 v[vgprValuC+2:vgprValuC+2+1], 0x0        // initC
	;; [unrolled: 1-line block ×4, first 2 shown]

s_cmp_eq_u32 s[sgprLoopCounterL], 0                // at last iteration?

/* after InitC, skip to end of prefetch last iter if numIter==0 */
s_cbranch_scc0 label_NoBranch_11                   // Only branch on scc1
s_getpc_B64 s[36:37]                               // addr of next instr
s_add_i32 s38, PrefetchGlobalLastIterEnd_5, 0x4    // target branch offset
s_add_u32 s36, s36, s38                            // add target branch offset
s_addc_u32 s37, s37, 0                             // add high and carry
s_setpc_b64 s[36:37]                               // branch to PrefetchGlobalLastIterEnd_5
label_NoBranch_11:

s_waitcnt vmcnt(16)                                // lgkmcnt=-1 vmcnt=16 8wait for global read


/* local write a */
_ds_store_b64 v[vgprLocalWriteAddrA], v[vgprG2LA+0:vgprG2LA+0+1] offset:0 // lwoA_0_0_0_0 = (0*LSCA)*(MT0I+PAD) + (0*LSPA) = 0
_ds_store_b64 v[vgprLocalWriteAddrA], v[vgprG2LA+2:vgprG2LA+2+1] offset:520 // lwoA_0_0_1_0 = (0*LSCA)*(MT0I+PAD) + (1*LSPA) = 520
_ds_store_b64 v[vgprLocalWriteAddrA], v[vgprG2LA+4:vgprG2LA+4+1] offset:1040 // lwoA_0_0_2_0 = (0*LSCA)*(MT0I+PAD) + (2*LSPA) = 1040
_ds_store_b64 v[vgprLocalWriteAddrA], v[vgprG2LA+6:vgprG2LA+6+1] offset:1560 // lwoA_0_0_3_0 = (0*LSCA)*(MT0I+PAD) + (3*LSPA) = 1560
_ds_store_b64 v[vgprLocalWriteAddrA], v[vgprG2LA+8:vgprG2LA+8+1] offset:2080 // lwoA_0_0_4_0 = (0*LSCA)*(MT0I+PAD) + (4*LSPA) = 2080
_ds_store_b64 v[vgprLocalWriteAddrA], v[vgprG2LA+10:vgprG2LA+10+1] offset:2600 // lwoA_0_0_5_0 = (0*LSCA)*(MT0I+PAD) + (5*LSPA) = 2600
_ds_store_b64 v[vgprLocalWriteAddrA], v[vgprG2LA+12:vgprG2LA+12+1] offset:3120 // lwoA_0_0_6_0 = (0*LSCA)*(MT0I+PAD) + (6*LSPA) = 3120
_ds_store_b64 v[vgprLocalWriteAddrA], v[vgprG2LA+14:vgprG2LA+14+1] offset:3640 // lwoA_0_0_7_0 = (0*LSCA)*(MT0I+PAD) + (7*LSPA) = 3640
_ds_store_b64 v[vgprLocalWriteAddrA], v[vgprG2LA+16:vgprG2LA+16+1] offset:4160 // lwoA_0_0_8_0 = (0*LSCA)*(MT0I+PAD) + (8*LSPA) = 4160
_ds_store_b64 v[vgprLocalWriteAddrA], v[vgprG2LA+18:vgprG2LA+18+1] offset:4680 // lwoA_0_0_9_0 = (0*LSCA)*(MT0I+PAD) + (9*LSPA) = 4680
_ds_store_b64 v[vgprLocalWriteAddrA], v[vgprG2LA+20:vgprG2LA+20+1] offset:5200 // lwoA_0_0_10_0 = (0*LSCA)*(MT0I+PAD) + (10*LSPA) = 5200
_ds_store_b64 v[vgprLocalWriteAddrA], v[vgprG2LA+22:vgprG2LA+22+1] offset:5720 // lwoA_0_0_11_0 = (0*LSCA)*(MT0I+PAD) + (11*LSPA) = 5720
_ds_store_b64 v[vgprLocalWriteAddrA], v[vgprG2LA+24:vgprG2LA+24+1] offset:6240 // lwoA_0_0_12_0 = (0*LSCA)*(MT0I+PAD) + (12*LSPA) = 6240
_ds_store_b64 v[vgprLocalWriteAddrA], v[vgprG2LA+26:vgprG2LA+26+1] offset:6760 // lwoA_0_0_13_0 = (0*LSCA)*(MT0I+PAD) + (13*LSPA) = 6760
_ds_store_b64 v[vgprLocalWriteAddrA], v[vgprG2LA+28:vgprG2LA+28+1] offset:7280 // lwoA_0_0_14_0 = (0*LSCA)*(MT0I+PAD) + (14*LSPA) = 7280
_ds_store_b64 v[vgprLocalWriteAddrA], v[vgprG2LA+30:vgprG2LA+30+1] offset:7800 // lwoA_0_0_15_0 = (0*LSCA)*(MT0I+PAD) + (15*LSPA) = 7800

/* local write b */


/* local write swap a */


	;; [unrolled: 1-line block ×3, first 2 shown]
/* local write swap b */


	;; [unrolled: 1-line block ×4, first 2 shown]
s_cmp_eq_u32 s[sgprLoopCounterL] 0x1               // PGR=2 but only 1 loop
s_cbranch_scc1 label_0012                          // PGR=2 but only 1 loop


_buffer_load_b64 v[vgprG2LA+0:vgprG2LA+0+1], v[vgprGlobalReadOffsetA+0], s[sgprSrdA:sgprSrdA+3], 0, offen offset:0 // G -> Reg 0_0_0_0
_buffer_load_b64 v[vgprG2LA+2:vgprG2LA+2+1], v[vgprGlobalReadOffsetA+1], s[sgprSrdA:sgprSrdA+3], 0, offen offset:0 // G -> Reg 0_0_1_0
_buffer_load_b64 v[vgprG2LA+4:vgprG2LA+4+1], v[vgprGlobalReadOffsetA+2], s[sgprSrdA:sgprSrdA+3], 0, offen offset:0 // G -> Reg 0_0_2_0
_buffer_load_b64 v[vgprG2LA+6:vgprG2LA+6+1], v[vgprGlobalReadOffsetA+3], s[sgprSrdA:sgprSrdA+3], 0, offen offset:0 // G -> Reg 0_0_3_0
_buffer_load_b64 v[vgprG2LA+8:vgprG2LA+8+1], v[vgprGlobalReadOffsetA+4], s[sgprSrdA:sgprSrdA+3], 0, offen offset:0 // G -> Reg 0_0_4_0
_buffer_load_b64 v[vgprG2LA+10:vgprG2LA+10+1], v[vgprGlobalReadOffsetA+5], s[sgprSrdA:sgprSrdA+3], 0, offen offset:0 // G -> Reg 0_0_5_0
_buffer_load_b64 v[vgprG2LA+12:vgprG2LA+12+1], v[vgprGlobalReadOffsetA+6], s[sgprSrdA:sgprSrdA+3], 0, offen offset:0 // G -> Reg 0_0_6_0
_buffer_load_b64 v[vgprG2LA+14:vgprG2LA+14+1], v[vgprGlobalReadOffsetA+7], s[sgprSrdA:sgprSrdA+3], 0, offen offset:0 // G -> Reg 0_0_7_0
_buffer_load_b64 v[vgprG2LA+16:vgprG2LA+16+1], v[vgprGlobalReadOffsetA+8], s[sgprSrdA:sgprSrdA+3], 0, offen offset:0 // G -> Reg 0_0_8_0
_buffer_load_b64 v[vgprG2LA+18:vgprG2LA+18+1], v[vgprGlobalReadOffsetA+9], s[sgprSrdA:sgprSrdA+3], 0, offen offset:0 // G -> Reg 0_0_9_0
_buffer_load_b64 v[vgprG2LA+20:vgprG2LA+20+1], v[vgprGlobalReadOffsetA+10], s[sgprSrdA:sgprSrdA+3], 0, offen offset:0 // G -> Reg 0_0_10_0
_buffer_load_b64 v[vgprG2LA+22:vgprG2LA+22+1], v[vgprGlobalReadOffsetA+11], s[sgprSrdA:sgprSrdA+3], 0, offen offset:0 // G -> Reg 0_0_11_0
_buffer_load_b64 v[vgprG2LA+24:vgprG2LA+24+1], v[vgprGlobalReadOffsetA+12], s[sgprSrdA:sgprSrdA+3], 0, offen offset:0 // G -> Reg 0_0_12_0
_buffer_load_b64 v[vgprG2LA+26:vgprG2LA+26+1], v[vgprGlobalReadOffsetA+13], s[sgprSrdA:sgprSrdA+3], 0, offen offset:0 // G -> Reg 0_0_13_0
_buffer_load_b64 v[vgprG2LA+28:vgprG2LA+28+1], v[vgprGlobalReadOffsetA+14], s[sgprSrdA:sgprSrdA+3], 0, offen offset:0 // G -> Reg 0_0_14_0
_buffer_load_b64 v[vgprG2LA+30:vgprG2LA+30+1], v[vgprGlobalReadOffsetA+15], s[sgprSrdA:sgprSrdA+3], 0, offen offset:0 // G -> Reg 0_0_15_0


_buffer_load_b64 v[vgprG2LB1+0:vgprG2LB1+0+1], v[vgprGlobalReadOffsetB+0], s[sgprSrdB:sgprSrdB+3], 0, offen offset:0 // G -> Reg 0_0_0_0
_buffer_load_b64 v[vgprG2LB1+2:vgprG2LB1+2+1], v[vgprGlobalReadOffsetB+1], s[sgprSrdB:sgprSrdB+3], 0, offen offset:0 // G -> Reg 0_0_1_0
_buffer_load_b64 v[vgprG2LB1+4:vgprG2LB1+4+1], v[vgprGlobalReadOffsetB+2], s[sgprSrdB:sgprSrdB+3], 0, offen offset:0 // G -> Reg 0_0_2_0
_buffer_load_b64 v[vgprG2LB1+6:vgprG2LB1+6+1], v[vgprGlobalReadOffsetB+3], s[sgprSrdB:sgprSrdB+3], 0, offen offset:0 // G -> Reg 0_0_3_0
_buffer_load_b64 v[vgprG2LB1+8:vgprG2LB1+8+1], v[vgprGlobalReadOffsetB+4], s[sgprSrdB:sgprSrdB+3], 0, offen offset:0 // G -> Reg 0_0_4_0
_buffer_load_b64 v[vgprG2LB1+10:vgprG2LB1+10+1], v[vgprGlobalReadOffsetB+5], s[sgprSrdB:sgprSrdB+3], 0, offen offset:0 // G -> Reg 0_0_5_0
_buffer_load_b64 v[vgprG2LB1+12:vgprG2LB1+12+1], v[vgprGlobalReadOffsetB+6], s[sgprSrdB:sgprSrdB+3], 0, offen offset:0 // G -> Reg 0_0_6_0
_buffer_load_b64 v[vgprG2LB1+14:vgprG2LB1+14+1], v[vgprGlobalReadOffsetB+7], s[sgprSrdB:sgprSrdB+3], 0, offen offset:0 // G -> Reg 0_0_7_0
_buffer_load_b64 v[vgprG2LB1+16:vgprG2LB1+16+1], v[vgprGlobalReadOffsetB+8], s[sgprSrdB:sgprSrdB+3], 0, offen offset:0 // G -> Reg 0_0_8_0
_buffer_load_b64 v[vgprG2LB1+18:vgprG2LB1+18+1], v[vgprGlobalReadOffsetB+9], s[sgprSrdB:sgprSrdB+3], 0, offen offset:0 // G -> Reg 0_0_9_0
_buffer_load_b64 v[vgprG2LB1+20:vgprG2LB1+20+1], v[vgprGlobalReadOffsetB+10], s[sgprSrdB:sgprSrdB+3], 0, offen offset:0 // G -> Reg 0_0_10_0
_buffer_load_b64 v[vgprG2LB1+22:vgprG2LB1+22+1], v[vgprGlobalReadOffsetB+11], s[sgprSrdB:sgprSrdB+3], 0, offen offset:0 // G -> Reg 0_0_11_0
_buffer_load_b64 v[vgprG2LB1+24:vgprG2LB1+24+1], v[vgprGlobalReadOffsetB+12], s[sgprSrdB:sgprSrdB+3], 0, offen offset:0 // G -> Reg 0_0_12_0
_buffer_load_b64 v[vgprG2LB1+26:vgprG2LB1+26+1], v[vgprGlobalReadOffsetB+13], s[sgprSrdB:sgprSrdB+3], 0, offen offset:0 // G -> Reg 0_0_13_0
_buffer_load_b64 v[vgprG2LB1+28:vgprG2LB1+28+1], v[vgprGlobalReadOffsetB+14], s[sgprSrdB:sgprSrdB+3], 0, offen offset:0 // G -> Reg 0_0_14_0
_buffer_load_b64 v[vgprG2LB1+30:vgprG2LB1+30+1], v[vgprGlobalReadOffsetB+15], s[sgprSrdB:sgprSrdB+3], 0, offen offset:0 // G -> Reg 0_0_15_0

label_0012:                                        // 

s_waitcnt lgkmcnt(0)                               // lgkmcnt=0 vmcnt=-10prefetch wait for local write

// Skip barrier: NumThreads=64


/* local read prefetch a */

_ds_load_b64 v[vgprValuA_X0_I0+0:vgprValuA_X0_I0+0+1], v[vgprLocalReadAddrA] offset:0 // L -> Reg lro=0 swapByteOffset=0 ti=16 vIdx=0 rIdx=0 oIdx=0 buffer=0 iui=0


/* local read prefetch b */


	;; [unrolled: 1-line block ×3, first 2 shown]
/* local read inc a */

/* N/A, lro->4 */
/* self.localReadDoCntA 1 self.localReadDoCntB 1 */


/* local read inc b */


	;; [unrolled: 1-line block ×4, first 2 shown]
/******************************************/
/* Unrolled Loop(s) - Begin               */
/******************************************/

openLoopL_13:
s_cmp_eq_u32 s[sgprLoopCounterL], 0x1              // LoopCounterL < EndCounter
s_cbranch_scc1 label_0014                          // PGR=2 but only 1 loop, toPGR1
s_cmp_le_u32 s[sgprLoopCounterL], 0x2              // LoopCounterL < EndCounter
s_cbranch_scc1 LoopEndL_evenexit_4                 // do not enter LoopL
LoopBeginL_1:


/******************************************/
/* Unrolled Loop 1/2 - Begin              */
/******************************************/

label_0015: // LoopCopy1 


/* Begin Each Unroll: Check VGPR.checkin for INT8 LW */



/* iter 0 */

s_waitcnt vmcnt(47)                                // lgkmcnt=-1 vmcnt=47global read wait for DirectToVgpr

/*  grEndMfmaIndex:4, lwStartMfmaIndex:14, lwEndMfmaIndex:14  */
/*  numMfmaForLR:0, barrierMfmaIndex:15, LocalWritePerMfma:16.000 */
/*  mfmaIndex:0  */
_ds_load_b64 v[vgprValuA_X1_I0+0:vgprValuA_X1_I0+0+1], v[vgprLocalReadAddrA] offset:32 // L -> Reg lro=4 swapByteOffset=0 ti=16 vIdx=0 rIdx=0 oIdx=0 buffer=1 iui=0
/* localReadsVacancy: latencyLeft 3 */
_ds_load_b64 v[vgprValuA_X2_I0+0:vgprValuA_X2_I0+0+1], v[vgprLocalReadAddrA] offset:64 // L -> Reg lro=8 swapByteOffset=0 ti=16 vIdx=0 rIdx=0 oIdx=0 buffer=2 iui=0
s_waitcnt lgkmcnt(2)                               // lgkmcnt=0 vmcnt=-1wait for prior local read local write old=0, new=1 newLW=0 newLR=1
v_mfma_f64_16x16x4_f64 v[0+0:7+0], v[vgprG2LB+0+0:vgprG2LB+0+0+1], v[vgprValuA_X0_I0+0+0+0:vgprValuA_X0_I0+0+0+0+1], v[0:7]
/* numPrefetchIter=0 */
/* dataAtIterA=-1 numReadsIterA=1 skipReadsIterA=1 readsPerIterA=1 */
/* dataAtIterB=-1 numReadsIterB=1 skipReadsIterB=1 readsPerIterB=1 */


/* iter 1 */

s_waitcnt vmcnt(46)                                // lgkmcnt=-1 vmcnt=46global read wait for DirectToVgpr

/*  grEndMfmaIndex:4, lwStartMfmaIndex:14, lwEndMfmaIndex:14  */
/*  numMfmaForLR:0, barrierMfmaIndex:15, LocalWritePerMfma:16.000 */
/*  mfmaIndex:1  */
/* localReadsVacancy: latencyLeft 5 */
_ds_load_b64 v[vgprValuA_X3_I0+0:vgprValuA_X3_I0+0+1], v[vgprLocalReadAddrA] offset:96 // L -> Reg lro=12 swapByteOffset=0 ti=16 vIdx=0 rIdx=0 oIdx=0 buffer=3 iui=0
_ds_load_b64 v[vgprValuA_X4_I0+0:vgprValuA_X4_I0+0+1], v[vgprLocalReadAddrA] offset:128 // L -> Reg lro=16 swapByteOffset=0 ti=16 vIdx=0 rIdx=0 oIdx=0 buffer=4 iui=0

/* global read inc A loopL */
s_add_u32 s[sgprSrdA+0], s[sgprSrdA+0], s[sgprGlobalReadIncsA+0] // gra SRD += inc(lower)
s_addc_u32  s[sgprSrdA+1], s[sgprSrdA+1], 0        // gra SRD += inc(upper)
s_sub_u32 s[sgprShadowLimitA+0], s[sgprShadowLimitA+0], s[sgprGlobalReadIncsA+0] // limit -= inc)
s_waitcnt lgkmcnt(3)                               // lgkmcnt=0 vmcnt=-1wait for prior local read local write old=1, new=1 newLW=0 newLR=0
v_mfma_f64_16x16x4_f64 v[0+0:7+0], v[vgprG2LB+2+0:vgprG2LB+2+0+1], v[vgprValuA_X1_I0+0+0+0:vgprValuA_X1_I0+0+0+0+1], v[0:7]
/* numPrefetchIter=0 */
/* dataAtIterA=0 numReadsIterA=2 skipReadsIterA=1 readsPerIterA=1 */
/* dataAtIterB=0 numReadsIterB=2 skipReadsIterB=1 readsPerIterB=1 */


/* iter 2 */

s_waitcnt vmcnt(45)                                // lgkmcnt=-1 vmcnt=45global read wait for DirectToVgpr

/*  grEndMfmaIndex:4, lwStartMfmaIndex:14, lwEndMfmaIndex:14  */
/*  numMfmaForLR:0, barrierMfmaIndex:15, LocalWritePerMfma:16.000 */
/*  mfmaIndex:2  */
/* localReadsVacancy: latencyLeft 5 */
_ds_load_b64 v[vgprValuA_X5_I0+0:vgprValuA_X5_I0+0+1], v[vgprLocalReadAddrA] offset:160 // L -> Reg lro=20 swapByteOffset=0 ti=16 vIdx=0 rIdx=0 oIdx=0 buffer=5 iui=0
_ds_load_b64 v[vgprValuA_X6_I0+0:vgprValuA_X6_I0+0+1], v[vgprLocalReadAddrA] offset:192 // L -> Reg lro=24 swapByteOffset=0 ti=16 vIdx=0 rIdx=0 oIdx=0 buffer=6 iui=0
s_subb_u32 s[sgprShadowLimitA+1], s[sgprShadowLimitA+1], 0 // limit -= inc)
s_cmp_eq_u32 s[sgprShadowLimitA+1], 0              // are we within 2^32?
s_cmov_b32 s[sgprSrdA+2], s[sgprShadowLimitA+0]    // Move shadow to real if we are within 2^32
s_waitcnt lgkmcnt(4)                               // lgkmcnt=0 vmcnt=-1wait for prior local read local write old=1, new=1 newLW=0 newLR=0
v_mfma_f64_16x16x4_f64 v[0+0:7+0], v[vgprG2LB+4+0:vgprG2LB+4+0+1], v[vgprValuA_X2_I0+0+0+0:vgprValuA_X2_I0+0+0+0+1], v[0:7]
/* numPrefetchIter=0 */
/* dataAtIterA=1 numReadsIterA=3 skipReadsIterA=1 readsPerIterA=1 */
/* dataAtIterB=1 numReadsIterB=3 skipReadsIterB=1 readsPerIterB=1 */


/* iter 3 */

s_waitcnt vmcnt(44)                                // lgkmcnt=-1 vmcnt=44global read wait for DirectToVgpr

/*  grEndMfmaIndex:4, lwStartMfmaIndex:14, lwEndMfmaIndex:14  */
/*  numMfmaForLR:0, barrierMfmaIndex:15, LocalWritePerMfma:16.000 */
/*  mfmaIndex:3  */
/* localReadsVacancy: latencyLeft 5 */
_ds_load_b64 v[vgprValuA_X7_I0+0:vgprValuA_X7_I0+0+1], v[vgprLocalReadAddrA] offset:224 // L -> Reg lro=28 swapByteOffset=0 ti=16 vIdx=0 rIdx=0 oIdx=0 buffer=7 iui=0
_ds_load_b64 v[vgprValuA_X8_I0+0:vgprValuA_X8_I0+0+1], v[vgprLocalReadAddrA] offset:256 // L -> Reg lro=32 swapByteOffset=0 ti=16 vIdx=0 rIdx=0 oIdx=0 buffer=8 iui=0

/* global read inc B loopL */
s_add_u32 s[sgprSrdB+0], s[sgprSrdB+0], s[sgprGlobalReadIncsB+0] // gra SRD += inc(lower)
s_addc_u32  s[sgprSrdB+1], s[sgprSrdB+1], 0        // gra SRD += inc(upper)
s_sub_u32 s[sgprShadowLimitB+0], s[sgprShadowLimitB+0], s[sgprGlobalReadIncsB+0] // limit -= inc)
s_waitcnt lgkmcnt(5)                               // lgkmcnt=0 vmcnt=-1wait for prior local read local write old=1, new=1 newLW=0 newLR=0
v_mfma_f64_16x16x4_f64 v[0+0:7+0], v[vgprG2LB+6+0:vgprG2LB+6+0+1], v[vgprValuA_X3_I0+0+0+0:vgprValuA_X3_I0+0+0+0+1], v[0:7]
/* numPrefetchIter=0 */
/* dataAtIterA=2 numReadsIterA=4 skipReadsIterA=1 readsPerIterA=1 */
/* dataAtIterB=2 numReadsIterB=4 skipReadsIterB=1 readsPerIterB=1 */


/* iter 4 */

s_waitcnt vmcnt(43)                                // lgkmcnt=-1 vmcnt=43global read wait for DirectToVgpr

/*  grEndMfmaIndex:4, lwStartMfmaIndex:14, lwEndMfmaIndex:14  */
/*  numMfmaForLR:0, barrierMfmaIndex:15, LocalWritePerMfma:16.000 */
/*  mfmaIndex:4  */
/* localReadsVacancy: latencyLeft 5 */
_ds_load_b64 v[vgprValuA_X9_I0+0:vgprValuA_X9_I0+0+1], v[vgprLocalReadAddrA] offset:288 // L -> Reg lro=36 swapByteOffset=0 ti=16 vIdx=0 rIdx=0 oIdx=0 buffer=9 iui=0
_ds_load_b64 v[vgprValuA_X10_I0+0:vgprValuA_X10_I0+0+1], v[vgprLocalReadAddrA] offset:320 // L -> Reg lro=40 swapByteOffset=0 ti=16 vIdx=0 rIdx=0 oIdx=0 buffer=10 iui=0
s_subb_u32 s[sgprShadowLimitB+1], s[sgprShadowLimitB+1], 0 // limit -= inc)
s_cmp_eq_u32 s[sgprShadowLimitB+1], 0              // are we within 2^32?
s_cmov_b32 s[sgprSrdB+2], s[sgprShadowLimitB+0]    // Move shadow to real if we are within 2^32
s_waitcnt lgkmcnt(6)                               // lgkmcnt=0 vmcnt=-1wait for prior local read local write old=1, new=1 newLW=0 newLR=0
v_mfma_f64_16x16x4_f64 v[0+0:7+0], v[vgprG2LB+8+0:vgprG2LB+8+0+1], v[vgprValuA_X4_I0+0+0+0:vgprValuA_X4_I0+0+0+0+1], v[0:7]
/* numPrefetchIter=0 */
/* dataAtIterA=3 numReadsIterA=5 skipReadsIterA=1 readsPerIterA=1 */
/* dataAtIterB=3 numReadsIterB=5 skipReadsIterB=1 readsPerIterB=1 */


/* iter 5 */

s_waitcnt vmcnt(42)                                // lgkmcnt=-1 vmcnt=42global read wait for DirectToVgpr

/*  grEndMfmaIndex:4, lwStartMfmaIndex:14, lwEndMfmaIndex:14  */
/*  numMfmaForLR:0, barrierMfmaIndex:15, LocalWritePerMfma:16.000 */
/*  mfmaIndex:5  */
/* localReadsVacancy: latencyLeft 5 */
_ds_load_b64 v[vgprValuA_X11_I0+0:vgprValuA_X11_I0+0+1], v[vgprLocalReadAddrA] offset:352 // L -> Reg lro=44 swapByteOffset=0 ti=16 vIdx=0 rIdx=0 oIdx=0 buffer=11 iui=0
_ds_load_b64 v[vgprValuA_X12_I0+0:vgprValuA_X12_I0+0+1], v[vgprLocalReadAddrA] offset:384 // L -> Reg lro=48 swapByteOffset=0 ti=16 vIdx=0 rIdx=0 oIdx=0 buffer=12 iui=0
s_waitcnt lgkmcnt(7)                               // lgkmcnt=0 vmcnt=-1wait for prior local read local write old=1, new=1 newLW=0 newLR=0
v_mfma_f64_16x16x4_f64 v[0+0:7+0], v[vgprG2LB+10+0:vgprG2LB+10+0+1], v[vgprValuA_X5_I0+0+0+0:vgprValuA_X5_I0+0+0+0+1], v[0:7]
/* numPrefetchIter=0 */
/* dataAtIterA=4 numReadsIterA=6 skipReadsIterA=1 readsPerIterA=1 */
/* dataAtIterB=4 numReadsIterB=6 skipReadsIterB=1 readsPerIterB=1 */


/* iter 6 */

s_waitcnt vmcnt(41)                                // lgkmcnt=-1 vmcnt=41global read wait for DirectToVgpr

/*  grEndMfmaIndex:4, lwStartMfmaIndex:14, lwEndMfmaIndex:14  */
/*  numMfmaForLR:0, barrierMfmaIndex:15, LocalWritePerMfma:16.000 */
/*  mfmaIndex:6  */
/* localReadsVacancy: latencyLeft 5 */
_ds_load_b64 v[vgprValuA_X13_I0+0:vgprValuA_X13_I0+0+1], v[vgprLocalReadAddrA] offset:416 // L -> Reg lro=52 swapByteOffset=0 ti=16 vIdx=0 rIdx=0 oIdx=0 buffer=13 iui=0
_ds_load_b64 v[vgprValuA_X14_I0+0:vgprValuA_X14_I0+0+1], v[vgprLocalReadAddrA] offset:448 // L -> Reg lro=56 swapByteOffset=0 ti=16 vIdx=0 rIdx=0 oIdx=0 buffer=14 iui=0
s_waitcnt lgkmcnt(8)                               // lgkmcnt=0 vmcnt=-1wait for prior local read local write old=1, new=1 newLW=0 newLR=0
v_mfma_f64_16x16x4_f64 v[0+0:7+0], v[vgprG2LB+12+0:vgprG2LB+12+0+1], v[vgprValuA_X6_I0+0+0+0:vgprValuA_X6_I0+0+0+0+1], v[0:7]
/* numPrefetchIter=0 */
/* dataAtIterA=5 numReadsIterA=7 skipReadsIterA=1 readsPerIterA=1 */
/* dataAtIterB=5 numReadsIterB=7 skipReadsIterB=1 readsPerIterB=1 */


/* iter 7 */

s_waitcnt vmcnt(40)                                // lgkmcnt=-1 vmcnt=40global read wait for DirectToVgpr

/*  grEndMfmaIndex:4, lwStartMfmaIndex:14, lwEndMfmaIndex:14  */
/*  numMfmaForLR:0, barrierMfmaIndex:15, LocalWritePerMfma:16.000 */
/*  mfmaIndex:7  */
/* localReadsVacancy: latencyLeft 5 */
_ds_load_b64 v[vgprValuA_X15_I0+0:vgprValuA_X15_I0+0+1], v[vgprLocalReadAddrA] offset:480 // L -> Reg lro=60 swapByteOffset=0 ti=16 vIdx=0 rIdx=0 oIdx=0 buffer=15 iui=0
s_waitcnt lgkmcnt(8)                               // lgkmcnt=0 vmcnt=-1wait for prior local read local write old=1, new=1 newLW=0 newLR=0
v_mfma_f64_16x16x4_f64 v[0+0:7+0], v[vgprG2LB+14+0:vgprG2LB+14+0+1], v[vgprValuA_X7_I0+0+0+0:vgprValuA_X7_I0+0+0+0+1], v[0:7]
/* numPrefetchIter=0 */
/* dataAtIterA=6 numReadsIterA=8 skipReadsIterA=1 readsPerIterA=1 */
/* dataAtIterB=6 numReadsIterB=8 skipReadsIterB=1 readsPerIterB=1 */


/* iter 8 */

s_waitcnt vmcnt(39)                                // lgkmcnt=-1 vmcnt=39global read wait for DirectToVgpr

/*  grEndMfmaIndex:4, lwStartMfmaIndex:14, lwEndMfmaIndex:14  */
/*  numMfmaForLR:0, barrierMfmaIndex:15, LocalWritePerMfma:16.000 */
/*  mfmaIndex:8  */
/* localReadsVacancy: latencyLeft 5 */
s_waitcnt lgkmcnt(7)                               // lgkmcnt=0 vmcnt=-1wait for prior local read local write old=1, new=1 newLW=0 newLR=0
v_mfma_f64_16x16x4_f64 v[0+0:7+0], v[vgprG2LB+16+0:vgprG2LB+16+0+1], v[vgprValuA_X8_I0+0+0+0:vgprValuA_X8_I0+0+0+0+1], v[0:7]
/* numPrefetchIter=0 */
/* dataAtIterA=7 numReadsIterA=9 skipReadsIterA=1 readsPerIterA=1 */
/* dataAtIterB=7 numReadsIterB=9 skipReadsIterB=1 readsPerIterB=1 */


/* iter 9 */

s_waitcnt vmcnt(38)                                // lgkmcnt=-1 vmcnt=38global read wait for DirectToVgpr

/*  grEndMfmaIndex:4, lwStartMfmaIndex:14, lwEndMfmaIndex:14  */
/*  numMfmaForLR:0, barrierMfmaIndex:15, LocalWritePerMfma:16.000 */
/*  mfmaIndex:9  */
/* localReadsVacancy: latencyLeft 5 */
s_waitcnt lgkmcnt(6)                               // lgkmcnt=0 vmcnt=-1wait for prior local read local write old=1, new=1 newLW=0 newLR=0
v_mfma_f64_16x16x4_f64 v[0+0:7+0], v[vgprG2LB+18+0:vgprG2LB+18+0+1], v[vgprValuA_X9_I0+0+0+0:vgprValuA_X9_I0+0+0+0+1], v[0:7]
/* numPrefetchIter=0 */
/* dataAtIterA=8 numReadsIterA=10 skipReadsIterA=1 readsPerIterA=1 */
/* dataAtIterB=8 numReadsIterB=10 skipReadsIterB=1 readsPerIterB=1 */


/* iter 10 */

s_waitcnt vmcnt(37)                                // lgkmcnt=-1 vmcnt=37global read wait for DirectToVgpr

/*  grEndMfmaIndex:4, lwStartMfmaIndex:14, lwEndMfmaIndex:14  */
/*  numMfmaForLR:0, barrierMfmaIndex:15, LocalWritePerMfma:16.000 */
/*  mfmaIndex:10  */
/* localReadsVacancy: latencyLeft 5 */
s_waitcnt lgkmcnt(5)                               // lgkmcnt=0 vmcnt=-1wait for prior local read local write old=1, new=1 newLW=0 newLR=0
v_mfma_f64_16x16x4_f64 v[0+0:7+0], v[vgprG2LB+20+0:vgprG2LB+20+0+1], v[vgprValuA_X10_I0+0+0+0:vgprValuA_X10_I0+0+0+0+1], v[0:7]
/* numPrefetchIter=0 */
/* dataAtIterA=9 numReadsIterA=11 skipReadsIterA=1 readsPerIterA=1 */
/* dataAtIterB=9 numReadsIterB=11 skipReadsIterB=1 readsPerIterB=1 */


/* iter 11 */

s_waitcnt vmcnt(36)                                // lgkmcnt=-1 vmcnt=36global read wait for DirectToVgpr

/*  grEndMfmaIndex:4, lwStartMfmaIndex:14, lwEndMfmaIndex:14  */
/*  numMfmaForLR:0, barrierMfmaIndex:15, LocalWritePerMfma:16.000 */
/*  mfmaIndex:11  */
/* localReadsVacancy: latencyLeft 5 */
s_waitcnt lgkmcnt(4)                               // lgkmcnt=0 vmcnt=-1wait for prior local read local write old=1, new=1 newLW=0 newLR=0
v_mfma_f64_16x16x4_f64 v[0+0:7+0], v[vgprG2LB+22+0:vgprG2LB+22+0+1], v[vgprValuA_X11_I0+0+0+0:vgprValuA_X11_I0+0+0+0+1], v[0:7]
/* numPrefetchIter=0 */
/* dataAtIterA=10 numReadsIterA=12 skipReadsIterA=1 readsPerIterA=1 */
/* dataAtIterB=10 numReadsIterB=12 skipReadsIterB=1 readsPerIterB=1 */


/* iter 12 */

s_waitcnt vmcnt(35)                                // lgkmcnt=-1 vmcnt=35global read wait for DirectToVgpr

/*  grEndMfmaIndex:4, lwStartMfmaIndex:14, lwEndMfmaIndex:14  */
/*  numMfmaForLR:0, barrierMfmaIndex:15, LocalWritePerMfma:16.000 */
/*  mfmaIndex:12  */
/* localReadsVacancy: latencyLeft 5 */
s_waitcnt lgkmcnt(3)                               // lgkmcnt=0 vmcnt=-1wait for prior local read local write old=1, new=1 newLW=0 newLR=0
v_mfma_f64_16x16x4_f64 v[0+0:7+0], v[vgprG2LB+24+0:vgprG2LB+24+0+1], v[vgprValuA_X12_I0+0+0+0:vgprValuA_X12_I0+0+0+0+1], v[0:7]
/* numPrefetchIter=0 */
/* dataAtIterA=11 numReadsIterA=13 skipReadsIterA=1 readsPerIterA=1 */
/* dataAtIterB=11 numReadsIterB=13 skipReadsIterB=1 readsPerIterB=1 */


/* iter 13 */

s_waitcnt vmcnt(34)                                // lgkmcnt=-1 vmcnt=34global read wait for DirectToVgpr

/*  grEndMfmaIndex:4, lwStartMfmaIndex:14, lwEndMfmaIndex:14  */
/*  numMfmaForLR:0, barrierMfmaIndex:15, LocalWritePerMfma:16.000 */
/*  mfmaIndex:13  */
/* localReadsVacancy: latencyLeft 5 */
/* 1 LDS buffer: read-sync-write */
s_waitcnt lgkmcnt(0)                               // 
s_barrier                                          // 
s_waitcnt lgkmcnt(2)                               // lgkmcnt=0 vmcnt=-1wait for prior local read local write old=1, new=1 newLW=0 newLR=0
v_mfma_f64_16x16x4_f64 v[0+0:7+0], v[vgprG2LB+26+0:vgprG2LB+26+0+1], v[vgprValuA_X13_I0+0+0+0:vgprValuA_X13_I0+0+0+0+1], v[0:7]
/* numPrefetchIter=0 */
/* dataAtIterA=12 numReadsIterA=14 skipReadsIterA=1 readsPerIterA=1 */
/* dataAtIterB=12 numReadsIterB=14 skipReadsIterB=1 readsPerIterB=1 */


/* iter 14 (reset local read pointers iteration)  (swap and reset local write pointers iteration)  (swap local read pointers iteration)  */

s_waitcnt vmcnt(33)                                // lgkmcnt=-1 vmcnt=33global read wait for DirectToVgpr

/*  grEndMfmaIndex:4, lwStartMfmaIndex:14, lwEndMfmaIndex:14  */
/*  numMfmaForLR:0, barrierMfmaIndex:15, LocalWritePerMfma:16.000 */
/*  mfmaIndex:14  */
/* sched write - iter 14 writesPerItem=1 */
s_waitcnt vmcnt(0)                                 // lgkmcnt=-1 vmcnt=0wait for global read before writing to local
_ds_store_b64 v[vgprLocalWriteAddrA], v[vgprG2LA+0:vgprG2LA+0+1] offset:0 // lwoA_0_0_0_0 = (0*LSCA)*(MT0I+PAD) + (0*LSPA) = 0
_buffer_load_b64 v[vgprG2LA+0:vgprG2LA+0+1], v[vgprGlobalReadOffsetA+0], s[sgprSrdA:sgprSrdA+3], 0, offen offset:0 // G -> Reg 0_0_0_0
/* sched write - iter 14 writesPerItem=1 */
s_waitcnt vmcnt(0)                                 // lgkmcnt=-1 vmcnt=0wait for global read before writing to local
_ds_store_b64 v[vgprLocalWriteAddrA], v[vgprG2LA+2:vgprG2LA+2+1] offset:520 // lwoA_0_0_1_0 = (0*LSCA)*(MT0I+PAD) + (1*LSPA) = 520
_buffer_load_b64 v[vgprG2LA+2:vgprG2LA+2+1], v[vgprGlobalReadOffsetA+1], s[sgprSrdA:sgprSrdA+3], 0, offen offset:0 // G -> Reg 0_0_1_0
/* sched write - iter 14 writesPerItem=1 */
s_waitcnt vmcnt(0)                                 // lgkmcnt=-1 vmcnt=0wait for global read before writing to local
_ds_store_b64 v[vgprLocalWriteAddrA], v[vgprG2LA+4:vgprG2LA+4+1] offset:1040 // lwoA_0_0_2_0 = (0*LSCA)*(MT0I+PAD) + (2*LSPA) = 1040
_buffer_load_b64 v[vgprG2LA+4:vgprG2LA+4+1], v[vgprGlobalReadOffsetA+2], s[sgprSrdA:sgprSrdA+3], 0, offen offset:0 // G -> Reg 0_0_2_0
/* sched write - iter 14 writesPerItem=1 */
s_waitcnt vmcnt(0)                                 // lgkmcnt=-1 vmcnt=0wait for global read before writing to local
_ds_store_b64 v[vgprLocalWriteAddrA], v[vgprG2LA+6:vgprG2LA+6+1] offset:1560 // lwoA_0_0_3_0 = (0*LSCA)*(MT0I+PAD) + (3*LSPA) = 1560
_buffer_load_b64 v[vgprG2LA+6:vgprG2LA+6+1], v[vgprGlobalReadOffsetA+3], s[sgprSrdA:sgprSrdA+3], 0, offen offset:0 // G -> Reg 0_0_3_0
/* sched write - iter 14 writesPerItem=1 */
s_waitcnt vmcnt(0)                                 // lgkmcnt=-1 vmcnt=0wait for global read before writing to local
_ds_store_b64 v[vgprLocalWriteAddrA], v[vgprG2LA+8:vgprG2LA+8+1] offset:2080 // lwoA_0_0_4_0 = (0*LSCA)*(MT0I+PAD) + (4*LSPA) = 2080
_buffer_load_b64 v[vgprG2LA+8:vgprG2LA+8+1], v[vgprGlobalReadOffsetA+4], s[sgprSrdA:sgprSrdA+3], 0, offen offset:0 // G -> Reg 0_0_4_0
/* sched write - iter 14 writesPerItem=1 */
s_waitcnt vmcnt(0)                                 // lgkmcnt=-1 vmcnt=0wait for global read before writing to local
_ds_store_b64 v[vgprLocalWriteAddrA], v[vgprG2LA+10:vgprG2LA+10+1] offset:2600 // lwoA_0_0_5_0 = (0*LSCA)*(MT0I+PAD) + (5*LSPA) = 2600
_buffer_load_b64 v[vgprG2LA+10:vgprG2LA+10+1], v[vgprGlobalReadOffsetA+5], s[sgprSrdA:sgprSrdA+3], 0, offen offset:0 // G -> Reg 0_0_5_0
/* sched write - iter 14 writesPerItem=1 */
s_waitcnt vmcnt(0)                                 // lgkmcnt=-1 vmcnt=0wait for global read before writing to local
_ds_store_b64 v[vgprLocalWriteAddrA], v[vgprG2LA+12:vgprG2LA+12+1] offset:3120 // lwoA_0_0_6_0 = (0*LSCA)*(MT0I+PAD) + (6*LSPA) = 3120
_buffer_load_b64 v[vgprG2LA+12:vgprG2LA+12+1], v[vgprGlobalReadOffsetA+6], s[sgprSrdA:sgprSrdA+3], 0, offen offset:0 // G -> Reg 0_0_6_0
/* sched write - iter 14 writesPerItem=1 */
s_waitcnt vmcnt(0)                                 // lgkmcnt=-1 vmcnt=0wait for global read before writing to local
_ds_store_b64 v[vgprLocalWriteAddrA], v[vgprG2LA+14:vgprG2LA+14+1] offset:3640 // lwoA_0_0_7_0 = (0*LSCA)*(MT0I+PAD) + (7*LSPA) = 3640
_buffer_load_b64 v[vgprG2LA+14:vgprG2LA+14+1], v[vgprGlobalReadOffsetA+7], s[sgprSrdA:sgprSrdA+3], 0, offen offset:0 // G -> Reg 0_0_7_0
/* sched write - iter 14 writesPerItem=1 */
s_waitcnt vmcnt(0)                                 // lgkmcnt=-1 vmcnt=0wait for global read before writing to local
_ds_store_b64 v[vgprLocalWriteAddrA], v[vgprG2LA+16:vgprG2LA+16+1] offset:4160 // lwoA_0_0_8_0 = (0*LSCA)*(MT0I+PAD) + (8*LSPA) = 4160
_buffer_load_b64 v[vgprG2LA+16:vgprG2LA+16+1], v[vgprGlobalReadOffsetA+8], s[sgprSrdA:sgprSrdA+3], 0, offen offset:0 // G -> Reg 0_0_8_0
/* sched write - iter 14 writesPerItem=1 */
s_waitcnt vmcnt(0)                                 // lgkmcnt=-1 vmcnt=0wait for global read before writing to local
_ds_store_b64 v[vgprLocalWriteAddrA], v[vgprG2LA+18:vgprG2LA+18+1] offset:4680 // lwoA_0_0_9_0 = (0*LSCA)*(MT0I+PAD) + (9*LSPA) = 4680
_buffer_load_b64 v[vgprG2LA+18:vgprG2LA+18+1], v[vgprGlobalReadOffsetA+9], s[sgprSrdA:sgprSrdA+3], 0, offen offset:0 // G -> Reg 0_0_9_0
/* sched write - iter 14 writesPerItem=1 */
s_waitcnt vmcnt(0)                                 // lgkmcnt=-1 vmcnt=0wait for global read before writing to local
_ds_store_b64 v[vgprLocalWriteAddrA], v[vgprG2LA+20:vgprG2LA+20+1] offset:5200 // lwoA_0_0_10_0 = (0*LSCA)*(MT0I+PAD) + (10*LSPA) = 5200
_buffer_load_b64 v[vgprG2LA+20:vgprG2LA+20+1], v[vgprGlobalReadOffsetA+10], s[sgprSrdA:sgprSrdA+3], 0, offen offset:0 // G -> Reg 0_0_10_0
/* sched write - iter 14 writesPerItem=1 */
s_waitcnt vmcnt(0)                                 // lgkmcnt=-1 vmcnt=0wait for global read before writing to local
_ds_store_b64 v[vgprLocalWriteAddrA], v[vgprG2LA+22:vgprG2LA+22+1] offset:5720 // lwoA_0_0_11_0 = (0*LSCA)*(MT0I+PAD) + (11*LSPA) = 5720
_buffer_load_b64 v[vgprG2LA+22:vgprG2LA+22+1], v[vgprGlobalReadOffsetA+11], s[sgprSrdA:sgprSrdA+3], 0, offen offset:0 // G -> Reg 0_0_11_0
/* sched write - iter 14 writesPerItem=1 */
s_waitcnt vmcnt(0)                                 // lgkmcnt=-1 vmcnt=0wait for global read before writing to local
_ds_store_b64 v[vgprLocalWriteAddrA], v[vgprG2LA+24:vgprG2LA+24+1] offset:6240 // lwoA_0_0_12_0 = (0*LSCA)*(MT0I+PAD) + (12*LSPA) = 6240
_buffer_load_b64 v[vgprG2LA+24:vgprG2LA+24+1], v[vgprGlobalReadOffsetA+12], s[sgprSrdA:sgprSrdA+3], 0, offen offset:0 // G -> Reg 0_0_12_0
/* sched write - iter 14 writesPerItem=1 */
s_waitcnt vmcnt(0)                                 // lgkmcnt=-1 vmcnt=0wait for global read before writing to local
_ds_store_b64 v[vgprLocalWriteAddrA], v[vgprG2LA+26:vgprG2LA+26+1] offset:6760 // lwoA_0_0_13_0 = (0*LSCA)*(MT0I+PAD) + (13*LSPA) = 6760
_buffer_load_b64 v[vgprG2LA+26:vgprG2LA+26+1], v[vgprGlobalReadOffsetA+13], s[sgprSrdA:sgprSrdA+3], 0, offen offset:0 // G -> Reg 0_0_13_0
/* sched write - iter 14 writesPerItem=1 */
s_waitcnt vmcnt(0)                                 // lgkmcnt=-1 vmcnt=0wait for global read before writing to local
_ds_store_b64 v[vgprLocalWriteAddrA], v[vgprG2LA+28:vgprG2LA+28+1] offset:7280 // lwoA_0_0_14_0 = (0*LSCA)*(MT0I+PAD) + (14*LSPA) = 7280
_buffer_load_b64 v[vgprG2LA+28:vgprG2LA+28+1], v[vgprGlobalReadOffsetA+14], s[sgprSrdA:sgprSrdA+3], 0, offen offset:0 // G -> Reg 0_0_14_0
/* sched write - iter 14 writesPerItem=1 */
s_waitcnt vmcnt(0)                                 // lgkmcnt=-1 vmcnt=0wait for global read before writing to local
_ds_store_b64 v[vgprLocalWriteAddrA], v[vgprG2LA+30:vgprG2LA+30+1] offset:7800 // lwoA_0_0_15_0 = (0*LSCA)*(MT0I+PAD) + (15*LSPA) = 7800
_buffer_load_b64 v[vgprG2LA+30:vgprG2LA+30+1], v[vgprGlobalReadOffsetA+15], s[sgprSrdA:sgprSrdA+3], 0, offen offset:0 // G -> Reg 0_0_15_0

/* local write swap offsets a */

/* local write swap offsets b */

/* local read swap offsets a */

/* local read swap offsets b */

/* local read init pointers a */

/* localReadInitPointers */

/* local read init pointers b */
s_waitcnt lgkmcnt(15)                              // lgkmcnt=0 vmcnt=-1wait for prior local read local write old=1, new=17 newLW=16 newLR=0
v_mfma_f64_16x16x4_f64 v[0+0:7+0], v[vgprG2LB+28+0:vgprG2LB+28+0+1], v[vgprValuA_X14_I0+0+0+0:vgprValuA_X14_I0+0+0+0+1], v[0:7]
/* numPrefetchIter=0 */
/* dataAtIterA=13 numReadsIterA=15 skipReadsIterA=1 readsPerIterA=1 */
/* dataAtIterB=13 numReadsIterB=15 skipReadsIterB=1 readsPerIterB=1 */


/* iter 15 */

/*  grEndMfmaIndex:4, lwStartMfmaIndex:14, lwEndMfmaIndex:14  */
/*  numMfmaForLR:0, barrierMfmaIndex:15, LocalWritePerMfma:16.000 */
/*  mfmaIndex:15  */
s_waitcnt lgkmcnt(0)                               // lgkmcnt=0 vmcnt=-13wait for local write
s_barrier
_ds_load_b64 v[vgprValuA_X0_I0+0:vgprValuA_X0_I0+0+1], v[vgprLocalReadAddrA] offset:0 // L -> Reg lro=0 swapByteOffset=0 ti=16 vIdx=0 rIdx=0 oIdx=0 buffer=0 iui=0
v_mfma_f64_16x16x4_f64 v[0+0:7+0], v[vgprG2LB+30+0:vgprG2LB+30+0+1], v[vgprValuA_X15_I0+0+0+0:vgprValuA_X15_I0+0+0+0+1], v[0:7]
_buffer_load_b64 v[vgprG2LB0+0:vgprG2LB0+0+1], v[vgprGlobalReadOffsetB+0], s[sgprSrdB:sgprSrdB+3], 0, offen offset:0 // G -> Reg 0_0_0_0
_buffer_load_b64 v[vgprG2LB0+2:vgprG2LB0+2+1], v[vgprGlobalReadOffsetB+1], s[sgprSrdB:sgprSrdB+3], 0, offen offset:0 // G -> Reg 0_0_1_0
_buffer_load_b64 v[vgprG2LB0+4:vgprG2LB0+4+1], v[vgprGlobalReadOffsetB+2], s[sgprSrdB:sgprSrdB+3], 0, offen offset:0 // G -> Reg 0_0_2_0
_buffer_load_b64 v[vgprG2LB0+6:vgprG2LB0+6+1], v[vgprGlobalReadOffsetB+3], s[sgprSrdB:sgprSrdB+3], 0, offen offset:0 // G -> Reg 0_0_3_0
_buffer_load_b64 v[vgprG2LB0+8:vgprG2LB0+8+1], v[vgprGlobalReadOffsetB+4], s[sgprSrdB:sgprSrdB+3], 0, offen offset:0 // G -> Reg 0_0_4_0
_buffer_load_b64 v[vgprG2LB0+10:vgprG2LB0+10+1], v[vgprGlobalReadOffsetB+5], s[sgprSrdB:sgprSrdB+3], 0, offen offset:0 // G -> Reg 0_0_5_0
_buffer_load_b64 v[vgprG2LB0+12:vgprG2LB0+12+1], v[vgprGlobalReadOffsetB+6], s[sgprSrdB:sgprSrdB+3], 0, offen offset:0 // G -> Reg 0_0_6_0
_buffer_load_b64 v[vgprG2LB0+14:vgprG2LB0+14+1], v[vgprGlobalReadOffsetB+7], s[sgprSrdB:sgprSrdB+3], 0, offen offset:0 // G -> Reg 0_0_7_0
_buffer_load_b64 v[vgprG2LB0+16:vgprG2LB0+16+1], v[vgprGlobalReadOffsetB+8], s[sgprSrdB:sgprSrdB+3], 0, offen offset:0 // G -> Reg 0_0_8_0
_buffer_load_b64 v[vgprG2LB0+18:vgprG2LB0+18+1], v[vgprGlobalReadOffsetB+9], s[sgprSrdB:sgprSrdB+3], 0, offen offset:0 // G -> Reg 0_0_9_0
_buffer_load_b64 v[vgprG2LB0+20:vgprG2LB0+20+1], v[vgprGlobalReadOffsetB+10], s[sgprSrdB:sgprSrdB+3], 0, offen offset:0 // G -> Reg 0_0_10_0
_buffer_load_b64 v[vgprG2LB0+22:vgprG2LB0+22+1], v[vgprGlobalReadOffsetB+11], s[sgprSrdB:sgprSrdB+3], 0, offen offset:0 // G -> Reg 0_0_11_0
_buffer_load_b64 v[vgprG2LB0+24:vgprG2LB0+24+1], v[vgprGlobalReadOffsetB+12], s[sgprSrdB:sgprSrdB+3], 0, offen offset:0 // G -> Reg 0_0_12_0
_buffer_load_b64 v[vgprG2LB0+26:vgprG2LB0+26+1], v[vgprGlobalReadOffsetB+13], s[sgprSrdB:sgprSrdB+3], 0, offen offset:0 // G -> Reg 0_0_13_0
_buffer_load_b64 v[vgprG2LB0+28:vgprG2LB0+28+1], v[vgprGlobalReadOffsetB+14], s[sgprSrdB:sgprSrdB+3], 0, offen offset:0 // G -> Reg 0_0_14_0
_buffer_load_b64 v[vgprG2LB0+30:vgprG2LB0+30+1], v[vgprGlobalReadOffsetB+15], s[sgprSrdB:sgprSrdB+3], 0, offen offset:0 // G -> Reg 0_0_15_0


/******************************************/
/* Unrolled Loop - End 1/2                */
/******************************************/


/* closeLoop loopL finalLoop=0 tailLoop=0 */
s_sub_u32 s[sgprLoopCounterL], s[sgprLoopCounterL], 1 // dec counterL
s_cmp_eq_i32 s[sgprLoopCounterL], 0x2              // counterL==2
s_cbranch_scc1 LoopEndL_oddexit_3                  // exit LoopL


/******************************************/
/* Unrolled Loop 2/2 - Begin              */
/******************************************/

label_0016: // LoopCopy2 


/* Begin Each Unroll: Check VGPR.checkin for INT8 LW */


	;; [unrolled: 1-line block ×3, first 2 shown]
/* iter 0 */

s_waitcnt vmcnt(47)                                // lgkmcnt=-1 vmcnt=47global read wait for DirectToVgpr

/*  grEndMfmaIndex:4, lwStartMfmaIndex:14, lwEndMfmaIndex:14  */
/*  numMfmaForLR:0, barrierMfmaIndex:15, LocalWritePerMfma:16.000 */
/*  mfmaIndex:0  */
_ds_load_b64 v[vgprValuA_X1_I0+0:vgprValuA_X1_I0+0+1], v[vgprLocalReadAddrA] offset:32 // L -> Reg lro=4 swapByteOffset=0 ti=16 vIdx=0 rIdx=0 oIdx=0 buffer=1 iui=0
/* localReadsVacancy: latencyLeft 3 */
_ds_load_b64 v[vgprValuA_X2_I0+0:vgprValuA_X2_I0+0+1], v[vgprLocalReadAddrA] offset:64 // L -> Reg lro=8 swapByteOffset=0 ti=16 vIdx=0 rIdx=0 oIdx=0 buffer=2 iui=0
s_waitcnt lgkmcnt(2)                               // lgkmcnt=0 vmcnt=-1wait for prior local read local write old=0, new=1 newLW=0 newLR=1
v_mfma_f64_16x16x4_f64 v[0+0:7+0], v[vgprG2LB+32+0:vgprG2LB+32+0+1], v[vgprValuA_X0_I0+0+0+0:vgprValuA_X0_I0+0+0+0+1], v[0:7]
/* numPrefetchIter=0 */
/* dataAtIterA=-1 numReadsIterA=1 skipReadsIterA=1 readsPerIterA=1 */
/* dataAtIterB=-1 numReadsIterB=1 skipReadsIterB=1 readsPerIterB=1 */


/* iter 1 */

s_waitcnt vmcnt(46)                                // lgkmcnt=-1 vmcnt=46global read wait for DirectToVgpr

/*  grEndMfmaIndex:4, lwStartMfmaIndex:14, lwEndMfmaIndex:14  */
/*  numMfmaForLR:0, barrierMfmaIndex:15, LocalWritePerMfma:16.000 */
/*  mfmaIndex:1  */
/* localReadsVacancy: latencyLeft 5 */
_ds_load_b64 v[vgprValuA_X3_I0+0:vgprValuA_X3_I0+0+1], v[vgprLocalReadAddrA] offset:96 // L -> Reg lro=12 swapByteOffset=0 ti=16 vIdx=0 rIdx=0 oIdx=0 buffer=3 iui=0
_ds_load_b64 v[vgprValuA_X4_I0+0:vgprValuA_X4_I0+0+1], v[vgprLocalReadAddrA] offset:128 // L -> Reg lro=16 swapByteOffset=0 ti=16 vIdx=0 rIdx=0 oIdx=0 buffer=4 iui=0

/* global read inc A loopL */
s_add_u32 s[sgprSrdA+0], s[sgprSrdA+0], s[sgprGlobalReadIncsA+0] // gra SRD += inc(lower)
s_addc_u32  s[sgprSrdA+1], s[sgprSrdA+1], 0        // gra SRD += inc(upper)
s_sub_u32 s[sgprShadowLimitA+0], s[sgprShadowLimitA+0], s[sgprGlobalReadIncsA+0] // limit -= inc)
s_waitcnt lgkmcnt(3)                               // lgkmcnt=0 vmcnt=-1wait for prior local read local write old=1, new=1 newLW=0 newLR=0
v_mfma_f64_16x16x4_f64 v[0+0:7+0], v[vgprG2LB+34+0:vgprG2LB+34+0+1], v[vgprValuA_X1_I0+0+0+0:vgprValuA_X1_I0+0+0+0+1], v[0:7]
/* numPrefetchIter=0 */
/* dataAtIterA=0 numReadsIterA=2 skipReadsIterA=1 readsPerIterA=1 */
/* dataAtIterB=0 numReadsIterB=2 skipReadsIterB=1 readsPerIterB=1 */


/* iter 2 */

s_waitcnt vmcnt(45)                                // lgkmcnt=-1 vmcnt=45global read wait for DirectToVgpr

/*  grEndMfmaIndex:4, lwStartMfmaIndex:14, lwEndMfmaIndex:14  */
/*  numMfmaForLR:0, barrierMfmaIndex:15, LocalWritePerMfma:16.000 */
/*  mfmaIndex:2  */
/* localReadsVacancy: latencyLeft 5 */
_ds_load_b64 v[vgprValuA_X5_I0+0:vgprValuA_X5_I0+0+1], v[vgprLocalReadAddrA] offset:160 // L -> Reg lro=20 swapByteOffset=0 ti=16 vIdx=0 rIdx=0 oIdx=0 buffer=5 iui=0
_ds_load_b64 v[vgprValuA_X6_I0+0:vgprValuA_X6_I0+0+1], v[vgprLocalReadAddrA] offset:192 // L -> Reg lro=24 swapByteOffset=0 ti=16 vIdx=0 rIdx=0 oIdx=0 buffer=6 iui=0
s_subb_u32 s[sgprShadowLimitA+1], s[sgprShadowLimitA+1], 0 // limit -= inc)
s_cmp_eq_u32 s[sgprShadowLimitA+1], 0              // are we within 2^32?
s_cmov_b32 s[sgprSrdA+2], s[sgprShadowLimitA+0]    // Move shadow to real if we are within 2^32
s_waitcnt lgkmcnt(4)                               // lgkmcnt=0 vmcnt=-1wait for prior local read local write old=1, new=1 newLW=0 newLR=0
v_mfma_f64_16x16x4_f64 v[0+0:7+0], v[vgprG2LB+36+0:vgprG2LB+36+0+1], v[vgprValuA_X2_I0+0+0+0:vgprValuA_X2_I0+0+0+0+1], v[0:7]
/* numPrefetchIter=0 */
/* dataAtIterA=1 numReadsIterA=3 skipReadsIterA=1 readsPerIterA=1 */
/* dataAtIterB=1 numReadsIterB=3 skipReadsIterB=1 readsPerIterB=1 */


/* iter 3 */

s_waitcnt vmcnt(44)                                // lgkmcnt=-1 vmcnt=44global read wait for DirectToVgpr

/*  grEndMfmaIndex:4, lwStartMfmaIndex:14, lwEndMfmaIndex:14  */
/*  numMfmaForLR:0, barrierMfmaIndex:15, LocalWritePerMfma:16.000 */
/*  mfmaIndex:3  */
/* localReadsVacancy: latencyLeft 5 */
_ds_load_b64 v[vgprValuA_X7_I0+0:vgprValuA_X7_I0+0+1], v[vgprLocalReadAddrA] offset:224 // L -> Reg lro=28 swapByteOffset=0 ti=16 vIdx=0 rIdx=0 oIdx=0 buffer=7 iui=0
_ds_load_b64 v[vgprValuA_X8_I0+0:vgprValuA_X8_I0+0+1], v[vgprLocalReadAddrA] offset:256 // L -> Reg lro=32 swapByteOffset=0 ti=16 vIdx=0 rIdx=0 oIdx=0 buffer=8 iui=0

/* global read inc B loopL */
s_add_u32 s[sgprSrdB+0], s[sgprSrdB+0], s[sgprGlobalReadIncsB+0] // gra SRD += inc(lower)
s_addc_u32  s[sgprSrdB+1], s[sgprSrdB+1], 0        // gra SRD += inc(upper)
s_sub_u32 s[sgprShadowLimitB+0], s[sgprShadowLimitB+0], s[sgprGlobalReadIncsB+0] // limit -= inc)
s_waitcnt lgkmcnt(5)                               // lgkmcnt=0 vmcnt=-1wait for prior local read local write old=1, new=1 newLW=0 newLR=0
v_mfma_f64_16x16x4_f64 v[0+0:7+0], v[vgprG2LB+38+0:vgprG2LB+38+0+1], v[vgprValuA_X3_I0+0+0+0:vgprValuA_X3_I0+0+0+0+1], v[0:7]
/* numPrefetchIter=0 */
/* dataAtIterA=2 numReadsIterA=4 skipReadsIterA=1 readsPerIterA=1 */
/* dataAtIterB=2 numReadsIterB=4 skipReadsIterB=1 readsPerIterB=1 */


/* iter 4 */

s_waitcnt vmcnt(43)                                // lgkmcnt=-1 vmcnt=43global read wait for DirectToVgpr

/*  grEndMfmaIndex:4, lwStartMfmaIndex:14, lwEndMfmaIndex:14  */
/*  numMfmaForLR:0, barrierMfmaIndex:15, LocalWritePerMfma:16.000 */
/*  mfmaIndex:4  */
/* localReadsVacancy: latencyLeft 5 */
_ds_load_b64 v[vgprValuA_X9_I0+0:vgprValuA_X9_I0+0+1], v[vgprLocalReadAddrA] offset:288 // L -> Reg lro=36 swapByteOffset=0 ti=16 vIdx=0 rIdx=0 oIdx=0 buffer=9 iui=0
_ds_load_b64 v[vgprValuA_X10_I0+0:vgprValuA_X10_I0+0+1], v[vgprLocalReadAddrA] offset:320 // L -> Reg lro=40 swapByteOffset=0 ti=16 vIdx=0 rIdx=0 oIdx=0 buffer=10 iui=0
s_subb_u32 s[sgprShadowLimitB+1], s[sgprShadowLimitB+1], 0 // limit -= inc)
s_cmp_eq_u32 s[sgprShadowLimitB+1], 0              // are we within 2^32?
s_cmov_b32 s[sgprSrdB+2], s[sgprShadowLimitB+0]    // Move shadow to real if we are within 2^32
s_waitcnt lgkmcnt(6)                               // lgkmcnt=0 vmcnt=-1wait for prior local read local write old=1, new=1 newLW=0 newLR=0
v_mfma_f64_16x16x4_f64 v[0+0:7+0], v[vgprG2LB+40+0:vgprG2LB+40+0+1], v[vgprValuA_X4_I0+0+0+0:vgprValuA_X4_I0+0+0+0+1], v[0:7]
/* numPrefetchIter=0 */
/* dataAtIterA=3 numReadsIterA=5 skipReadsIterA=1 readsPerIterA=1 */
/* dataAtIterB=3 numReadsIterB=5 skipReadsIterB=1 readsPerIterB=1 */


/* iter 5 */

s_waitcnt vmcnt(42)                                // lgkmcnt=-1 vmcnt=42global read wait for DirectToVgpr

/*  grEndMfmaIndex:4, lwStartMfmaIndex:14, lwEndMfmaIndex:14  */
/*  numMfmaForLR:0, barrierMfmaIndex:15, LocalWritePerMfma:16.000 */
/*  mfmaIndex:5  */
/* localReadsVacancy: latencyLeft 5 */
_ds_load_b64 v[vgprValuA_X11_I0+0:vgprValuA_X11_I0+0+1], v[vgprLocalReadAddrA] offset:352 // L -> Reg lro=44 swapByteOffset=0 ti=16 vIdx=0 rIdx=0 oIdx=0 buffer=11 iui=0
_ds_load_b64 v[vgprValuA_X12_I0+0:vgprValuA_X12_I0+0+1], v[vgprLocalReadAddrA] offset:384 // L -> Reg lro=48 swapByteOffset=0 ti=16 vIdx=0 rIdx=0 oIdx=0 buffer=12 iui=0
s_waitcnt lgkmcnt(7)                               // lgkmcnt=0 vmcnt=-1wait for prior local read local write old=1, new=1 newLW=0 newLR=0
v_mfma_f64_16x16x4_f64 v[0+0:7+0], v[vgprG2LB+42+0:vgprG2LB+42+0+1], v[vgprValuA_X5_I0+0+0+0:vgprValuA_X5_I0+0+0+0+1], v[0:7]
/* numPrefetchIter=0 */
/* dataAtIterA=4 numReadsIterA=6 skipReadsIterA=1 readsPerIterA=1 */
/* dataAtIterB=4 numReadsIterB=6 skipReadsIterB=1 readsPerIterB=1 */


/* iter 6 */

s_waitcnt vmcnt(41)                                // lgkmcnt=-1 vmcnt=41global read wait for DirectToVgpr

/*  grEndMfmaIndex:4, lwStartMfmaIndex:14, lwEndMfmaIndex:14  */
/*  numMfmaForLR:0, barrierMfmaIndex:15, LocalWritePerMfma:16.000 */
/*  mfmaIndex:6  */
/* localReadsVacancy: latencyLeft 5 */
_ds_load_b64 v[vgprValuA_X13_I0+0:vgprValuA_X13_I0+0+1], v[vgprLocalReadAddrA] offset:416 // L -> Reg lro=52 swapByteOffset=0 ti=16 vIdx=0 rIdx=0 oIdx=0 buffer=13 iui=0
_ds_load_b64 v[vgprValuA_X14_I0+0:vgprValuA_X14_I0+0+1], v[vgprLocalReadAddrA] offset:448 // L -> Reg lro=56 swapByteOffset=0 ti=16 vIdx=0 rIdx=0 oIdx=0 buffer=14 iui=0
s_waitcnt lgkmcnt(8)                               // lgkmcnt=0 vmcnt=-1wait for prior local read local write old=1, new=1 newLW=0 newLR=0
v_mfma_f64_16x16x4_f64 v[0+0:7+0], v[vgprG2LB+44+0:vgprG2LB+44+0+1], v[vgprValuA_X6_I0+0+0+0:vgprValuA_X6_I0+0+0+0+1], v[0:7]
/* numPrefetchIter=0 */
/* dataAtIterA=5 numReadsIterA=7 skipReadsIterA=1 readsPerIterA=1 */
/* dataAtIterB=5 numReadsIterB=7 skipReadsIterB=1 readsPerIterB=1 */


/* iter 7 */

s_waitcnt vmcnt(40)                                // lgkmcnt=-1 vmcnt=40global read wait for DirectToVgpr

/*  grEndMfmaIndex:4, lwStartMfmaIndex:14, lwEndMfmaIndex:14  */
/*  numMfmaForLR:0, barrierMfmaIndex:15, LocalWritePerMfma:16.000 */
/*  mfmaIndex:7  */
/* localReadsVacancy: latencyLeft 5 */
_ds_load_b64 v[vgprValuA_X15_I0+0:vgprValuA_X15_I0+0+1], v[vgprLocalReadAddrA] offset:480 // L -> Reg lro=60 swapByteOffset=0 ti=16 vIdx=0 rIdx=0 oIdx=0 buffer=15 iui=0
s_waitcnt lgkmcnt(8)                               // lgkmcnt=0 vmcnt=-1wait for prior local read local write old=1, new=1 newLW=0 newLR=0
v_mfma_f64_16x16x4_f64 v[0+0:7+0], v[vgprG2LB+46+0:vgprG2LB+46+0+1], v[vgprValuA_X7_I0+0+0+0:vgprValuA_X7_I0+0+0+0+1], v[0:7]
/* numPrefetchIter=0 */
/* dataAtIterA=6 numReadsIterA=8 skipReadsIterA=1 readsPerIterA=1 */
/* dataAtIterB=6 numReadsIterB=8 skipReadsIterB=1 readsPerIterB=1 */


/* iter 8 */

s_waitcnt vmcnt(39)                                // lgkmcnt=-1 vmcnt=39global read wait for DirectToVgpr

/*  grEndMfmaIndex:4, lwStartMfmaIndex:14, lwEndMfmaIndex:14  */
/*  numMfmaForLR:0, barrierMfmaIndex:15, LocalWritePerMfma:16.000 */
/*  mfmaIndex:8  */
/* localReadsVacancy: latencyLeft 5 */
s_waitcnt lgkmcnt(7)                               // lgkmcnt=0 vmcnt=-1wait for prior local read local write old=1, new=1 newLW=0 newLR=0
v_mfma_f64_16x16x4_f64 v[0+0:7+0], v[vgprG2LB+48+0:vgprG2LB+48+0+1], v[vgprValuA_X8_I0+0+0+0:vgprValuA_X8_I0+0+0+0+1], v[0:7]
/* numPrefetchIter=0 */
/* dataAtIterA=7 numReadsIterA=9 skipReadsIterA=1 readsPerIterA=1 */
/* dataAtIterB=7 numReadsIterB=9 skipReadsIterB=1 readsPerIterB=1 */


/* iter 9 */

s_waitcnt vmcnt(38)                                // lgkmcnt=-1 vmcnt=38global read wait for DirectToVgpr

/*  grEndMfmaIndex:4, lwStartMfmaIndex:14, lwEndMfmaIndex:14  */
/*  numMfmaForLR:0, barrierMfmaIndex:15, LocalWritePerMfma:16.000 */
/*  mfmaIndex:9  */
/* localReadsVacancy: latencyLeft 5 */
s_waitcnt lgkmcnt(6)                               // lgkmcnt=0 vmcnt=-1wait for prior local read local write old=1, new=1 newLW=0 newLR=0
v_mfma_f64_16x16x4_f64 v[0+0:7+0], v[vgprG2LB+50+0:vgprG2LB+50+0+1], v[vgprValuA_X9_I0+0+0+0:vgprValuA_X9_I0+0+0+0+1], v[0:7]
/* numPrefetchIter=0 */
/* dataAtIterA=8 numReadsIterA=10 skipReadsIterA=1 readsPerIterA=1 */
/* dataAtIterB=8 numReadsIterB=10 skipReadsIterB=1 readsPerIterB=1 */


/* iter 10 */

s_waitcnt vmcnt(37)                                // lgkmcnt=-1 vmcnt=37global read wait for DirectToVgpr

/*  grEndMfmaIndex:4, lwStartMfmaIndex:14, lwEndMfmaIndex:14  */
/*  numMfmaForLR:0, barrierMfmaIndex:15, LocalWritePerMfma:16.000 */
/*  mfmaIndex:10  */
/* localReadsVacancy: latencyLeft 5 */
s_waitcnt lgkmcnt(5)                               // lgkmcnt=0 vmcnt=-1wait for prior local read local write old=1, new=1 newLW=0 newLR=0
v_mfma_f64_16x16x4_f64 v[0+0:7+0], v[vgprG2LB+52+0:vgprG2LB+52+0+1], v[vgprValuA_X10_I0+0+0+0:vgprValuA_X10_I0+0+0+0+1], v[0:7]
/* numPrefetchIter=0 */
/* dataAtIterA=9 numReadsIterA=11 skipReadsIterA=1 readsPerIterA=1 */
/* dataAtIterB=9 numReadsIterB=11 skipReadsIterB=1 readsPerIterB=1 */


/* iter 11 */

s_waitcnt vmcnt(36)                                // lgkmcnt=-1 vmcnt=36global read wait for DirectToVgpr

/*  grEndMfmaIndex:4, lwStartMfmaIndex:14, lwEndMfmaIndex:14  */
/*  numMfmaForLR:0, barrierMfmaIndex:15, LocalWritePerMfma:16.000 */
/*  mfmaIndex:11  */
/* localReadsVacancy: latencyLeft 5 */
s_waitcnt lgkmcnt(4)                               // lgkmcnt=0 vmcnt=-1wait for prior local read local write old=1, new=1 newLW=0 newLR=0
v_mfma_f64_16x16x4_f64 v[0+0:7+0], v[vgprG2LB+54+0:vgprG2LB+54+0+1], v[vgprValuA_X11_I0+0+0+0:vgprValuA_X11_I0+0+0+0+1], v[0:7]
/* numPrefetchIter=0 */
/* dataAtIterA=10 numReadsIterA=12 skipReadsIterA=1 readsPerIterA=1 */
/* dataAtIterB=10 numReadsIterB=12 skipReadsIterB=1 readsPerIterB=1 */


/* iter 12 */

s_waitcnt vmcnt(35)                                // lgkmcnt=-1 vmcnt=35global read wait for DirectToVgpr

/*  grEndMfmaIndex:4, lwStartMfmaIndex:14, lwEndMfmaIndex:14  */
/*  numMfmaForLR:0, barrierMfmaIndex:15, LocalWritePerMfma:16.000 */
/*  mfmaIndex:12  */
/* localReadsVacancy: latencyLeft 5 */
s_waitcnt lgkmcnt(3)                               // lgkmcnt=0 vmcnt=-1wait for prior local read local write old=1, new=1 newLW=0 newLR=0
v_mfma_f64_16x16x4_f64 v[0+0:7+0], v[vgprG2LB+56+0:vgprG2LB+56+0+1], v[vgprValuA_X12_I0+0+0+0:vgprValuA_X12_I0+0+0+0+1], v[0:7]
/* numPrefetchIter=0 */
/* dataAtIterA=11 numReadsIterA=13 skipReadsIterA=1 readsPerIterA=1 */
/* dataAtIterB=11 numReadsIterB=13 skipReadsIterB=1 readsPerIterB=1 */


/* iter 13 */

s_waitcnt vmcnt(34)                                // lgkmcnt=-1 vmcnt=34global read wait for DirectToVgpr

/*  grEndMfmaIndex:4, lwStartMfmaIndex:14, lwEndMfmaIndex:14  */
/*  numMfmaForLR:0, barrierMfmaIndex:15, LocalWritePerMfma:16.000 */
/*  mfmaIndex:13  */
/* localReadsVacancy: latencyLeft 5 */
/* 1 LDS buffer: read-sync-write */
s_waitcnt lgkmcnt(0)                               // 
s_barrier                                          // 
s_waitcnt lgkmcnt(2)                               // lgkmcnt=0 vmcnt=-1wait for prior local read local write old=1, new=1 newLW=0 newLR=0
v_mfma_f64_16x16x4_f64 v[0+0:7+0], v[vgprG2LB+58+0:vgprG2LB+58+0+1], v[vgprValuA_X13_I0+0+0+0:vgprValuA_X13_I0+0+0+0+1], v[0:7]
/* numPrefetchIter=0 */
/* dataAtIterA=12 numReadsIterA=14 skipReadsIterA=1 readsPerIterA=1 */
/* dataAtIterB=12 numReadsIterB=14 skipReadsIterB=1 readsPerIterB=1 */


/* iter 14 (reset local read pointers iteration)  (swap and reset local write pointers iteration)  (swap local read pointers iteration)  */

s_waitcnt vmcnt(33)                                // lgkmcnt=-1 vmcnt=33global read wait for DirectToVgpr

/*  grEndMfmaIndex:4, lwStartMfmaIndex:14, lwEndMfmaIndex:14  */
/*  numMfmaForLR:0, barrierMfmaIndex:15, LocalWritePerMfma:16.000 */
/*  mfmaIndex:14  */
/* sched write - iter 14 writesPerItem=1 */
s_waitcnt vmcnt(0)                                 // lgkmcnt=-1 vmcnt=0wait for global read before writing to local
_ds_store_b64 v[vgprLocalWriteAddrA], v[vgprG2LA+0:vgprG2LA+0+1] offset:0 // lwoA_0_0_0_0 = (0*LSCA)*(MT0I+PAD) + (0*LSPA) = 0
_buffer_load_b64 v[vgprG2LA+0:vgprG2LA+0+1], v[vgprGlobalReadOffsetA+0], s[sgprSrdA:sgprSrdA+3], 0, offen offset:0 // G -> Reg 0_0_0_0
/* sched write - iter 14 writesPerItem=1 */
s_waitcnt vmcnt(0)                                 // lgkmcnt=-1 vmcnt=0wait for global read before writing to local
_ds_store_b64 v[vgprLocalWriteAddrA], v[vgprG2LA+2:vgprG2LA+2+1] offset:520 // lwoA_0_0_1_0 = (0*LSCA)*(MT0I+PAD) + (1*LSPA) = 520
_buffer_load_b64 v[vgprG2LA+2:vgprG2LA+2+1], v[vgprGlobalReadOffsetA+1], s[sgprSrdA:sgprSrdA+3], 0, offen offset:0 // G -> Reg 0_0_1_0
/* sched write - iter 14 writesPerItem=1 */
s_waitcnt vmcnt(0)                                 // lgkmcnt=-1 vmcnt=0wait for global read before writing to local
_ds_store_b64 v[vgprLocalWriteAddrA], v[vgprG2LA+4:vgprG2LA+4+1] offset:1040 // lwoA_0_0_2_0 = (0*LSCA)*(MT0I+PAD) + (2*LSPA) = 1040
_buffer_load_b64 v[vgprG2LA+4:vgprG2LA+4+1], v[vgprGlobalReadOffsetA+2], s[sgprSrdA:sgprSrdA+3], 0, offen offset:0 // G -> Reg 0_0_2_0
/* sched write - iter 14 writesPerItem=1 */
s_waitcnt vmcnt(0)                                 // lgkmcnt=-1 vmcnt=0wait for global read before writing to local
_ds_store_b64 v[vgprLocalWriteAddrA], v[vgprG2LA+6:vgprG2LA+6+1] offset:1560 // lwoA_0_0_3_0 = (0*LSCA)*(MT0I+PAD) + (3*LSPA) = 1560
_buffer_load_b64 v[vgprG2LA+6:vgprG2LA+6+1], v[vgprGlobalReadOffsetA+3], s[sgprSrdA:sgprSrdA+3], 0, offen offset:0 // G -> Reg 0_0_3_0
/* sched write - iter 14 writesPerItem=1 */
s_waitcnt vmcnt(0)                                 // lgkmcnt=-1 vmcnt=0wait for global read before writing to local
_ds_store_b64 v[vgprLocalWriteAddrA], v[vgprG2LA+8:vgprG2LA+8+1] offset:2080 // lwoA_0_0_4_0 = (0*LSCA)*(MT0I+PAD) + (4*LSPA) = 2080
_buffer_load_b64 v[vgprG2LA+8:vgprG2LA+8+1], v[vgprGlobalReadOffsetA+4], s[sgprSrdA:sgprSrdA+3], 0, offen offset:0 // G -> Reg 0_0_4_0
/* sched write - iter 14 writesPerItem=1 */
s_waitcnt vmcnt(0)                                 // lgkmcnt=-1 vmcnt=0wait for global read before writing to local
_ds_store_b64 v[vgprLocalWriteAddrA], v[vgprG2LA+10:vgprG2LA+10+1] offset:2600 // lwoA_0_0_5_0 = (0*LSCA)*(MT0I+PAD) + (5*LSPA) = 2600
_buffer_load_b64 v[vgprG2LA+10:vgprG2LA+10+1], v[vgprGlobalReadOffsetA+5], s[sgprSrdA:sgprSrdA+3], 0, offen offset:0 // G -> Reg 0_0_5_0
/* sched write - iter 14 writesPerItem=1 */
s_waitcnt vmcnt(0)                                 // lgkmcnt=-1 vmcnt=0wait for global read before writing to local
_ds_store_b64 v[vgprLocalWriteAddrA], v[vgprG2LA+12:vgprG2LA+12+1] offset:3120 // lwoA_0_0_6_0 = (0*LSCA)*(MT0I+PAD) + (6*LSPA) = 3120
_buffer_load_b64 v[vgprG2LA+12:vgprG2LA+12+1], v[vgprGlobalReadOffsetA+6], s[sgprSrdA:sgprSrdA+3], 0, offen offset:0 // G -> Reg 0_0_6_0
/* sched write - iter 14 writesPerItem=1 */
s_waitcnt vmcnt(0)                                 // lgkmcnt=-1 vmcnt=0wait for global read before writing to local
_ds_store_b64 v[vgprLocalWriteAddrA], v[vgprG2LA+14:vgprG2LA+14+1] offset:3640 // lwoA_0_0_7_0 = (0*LSCA)*(MT0I+PAD) + (7*LSPA) = 3640
_buffer_load_b64 v[vgprG2LA+14:vgprG2LA+14+1], v[vgprGlobalReadOffsetA+7], s[sgprSrdA:sgprSrdA+3], 0, offen offset:0 // G -> Reg 0_0_7_0
/* sched write - iter 14 writesPerItem=1 */
s_waitcnt vmcnt(0)                                 // lgkmcnt=-1 vmcnt=0wait for global read before writing to local
_ds_store_b64 v[vgprLocalWriteAddrA], v[vgprG2LA+16:vgprG2LA+16+1] offset:4160 // lwoA_0_0_8_0 = (0*LSCA)*(MT0I+PAD) + (8*LSPA) = 4160
_buffer_load_b64 v[vgprG2LA+16:vgprG2LA+16+1], v[vgprGlobalReadOffsetA+8], s[sgprSrdA:sgprSrdA+3], 0, offen offset:0 // G -> Reg 0_0_8_0
/* sched write - iter 14 writesPerItem=1 */
s_waitcnt vmcnt(0)                                 // lgkmcnt=-1 vmcnt=0wait for global read before writing to local
_ds_store_b64 v[vgprLocalWriteAddrA], v[vgprG2LA+18:vgprG2LA+18+1] offset:4680 // lwoA_0_0_9_0 = (0*LSCA)*(MT0I+PAD) + (9*LSPA) = 4680
_buffer_load_b64 v[vgprG2LA+18:vgprG2LA+18+1], v[vgprGlobalReadOffsetA+9], s[sgprSrdA:sgprSrdA+3], 0, offen offset:0 // G -> Reg 0_0_9_0
/* sched write - iter 14 writesPerItem=1 */
s_waitcnt vmcnt(0)                                 // lgkmcnt=-1 vmcnt=0wait for global read before writing to local
_ds_store_b64 v[vgprLocalWriteAddrA], v[vgprG2LA+20:vgprG2LA+20+1] offset:5200 // lwoA_0_0_10_0 = (0*LSCA)*(MT0I+PAD) + (10*LSPA) = 5200
_buffer_load_b64 v[vgprG2LA+20:vgprG2LA+20+1], v[vgprGlobalReadOffsetA+10], s[sgprSrdA:sgprSrdA+3], 0, offen offset:0 // G -> Reg 0_0_10_0
/* sched write - iter 14 writesPerItem=1 */
s_waitcnt vmcnt(0)                                 // lgkmcnt=-1 vmcnt=0wait for global read before writing to local
_ds_store_b64 v[vgprLocalWriteAddrA], v[vgprG2LA+22:vgprG2LA+22+1] offset:5720 // lwoA_0_0_11_0 = (0*LSCA)*(MT0I+PAD) + (11*LSPA) = 5720
_buffer_load_b64 v[vgprG2LA+22:vgprG2LA+22+1], v[vgprGlobalReadOffsetA+11], s[sgprSrdA:sgprSrdA+3], 0, offen offset:0 // G -> Reg 0_0_11_0
/* sched write - iter 14 writesPerItem=1 */
s_waitcnt vmcnt(0)                                 // lgkmcnt=-1 vmcnt=0wait for global read before writing to local
_ds_store_b64 v[vgprLocalWriteAddrA], v[vgprG2LA+24:vgprG2LA+24+1] offset:6240 // lwoA_0_0_12_0 = (0*LSCA)*(MT0I+PAD) + (12*LSPA) = 6240
_buffer_load_b64 v[vgprG2LA+24:vgprG2LA+24+1], v[vgprGlobalReadOffsetA+12], s[sgprSrdA:sgprSrdA+3], 0, offen offset:0 // G -> Reg 0_0_12_0
/* sched write - iter 14 writesPerItem=1 */
s_waitcnt vmcnt(0)                                 // lgkmcnt=-1 vmcnt=0wait for global read before writing to local
_ds_store_b64 v[vgprLocalWriteAddrA], v[vgprG2LA+26:vgprG2LA+26+1] offset:6760 // lwoA_0_0_13_0 = (0*LSCA)*(MT0I+PAD) + (13*LSPA) = 6760
_buffer_load_b64 v[vgprG2LA+26:vgprG2LA+26+1], v[vgprGlobalReadOffsetA+13], s[sgprSrdA:sgprSrdA+3], 0, offen offset:0 // G -> Reg 0_0_13_0
/* sched write - iter 14 writesPerItem=1 */
s_waitcnt vmcnt(0)                                 // lgkmcnt=-1 vmcnt=0wait for global read before writing to local
_ds_store_b64 v[vgprLocalWriteAddrA], v[vgprG2LA+28:vgprG2LA+28+1] offset:7280 // lwoA_0_0_14_0 = (0*LSCA)*(MT0I+PAD) + (14*LSPA) = 7280
_buffer_load_b64 v[vgprG2LA+28:vgprG2LA+28+1], v[vgprGlobalReadOffsetA+14], s[sgprSrdA:sgprSrdA+3], 0, offen offset:0 // G -> Reg 0_0_14_0
/* sched write - iter 14 writesPerItem=1 */
s_waitcnt vmcnt(0)                                 // lgkmcnt=-1 vmcnt=0wait for global read before writing to local
_ds_store_b64 v[vgprLocalWriteAddrA], v[vgprG2LA+30:vgprG2LA+30+1] offset:7800 // lwoA_0_0_15_0 = (0*LSCA)*(MT0I+PAD) + (15*LSPA) = 7800
_buffer_load_b64 v[vgprG2LA+30:vgprG2LA+30+1], v[vgprGlobalReadOffsetA+15], s[sgprSrdA:sgprSrdA+3], 0, offen offset:0 // G -> Reg 0_0_15_0

/* local write swap offsets a */

/* local write swap offsets b */

/* local read swap offsets a */

/* local read swap offsets b */

/* local read init pointers a */

/* localReadInitPointers */

/* local read init pointers b */
s_waitcnt lgkmcnt(15)                              // lgkmcnt=0 vmcnt=-1wait for prior local read local write old=1, new=17 newLW=16 newLR=0
v_mfma_f64_16x16x4_f64 v[0+0:7+0], v[vgprG2LB+60+0:vgprG2LB+60+0+1], v[vgprValuA_X14_I0+0+0+0:vgprValuA_X14_I0+0+0+0+1], v[0:7]
/* numPrefetchIter=0 */
/* dataAtIterA=13 numReadsIterA=15 skipReadsIterA=1 readsPerIterA=1 */
/* dataAtIterB=13 numReadsIterB=15 skipReadsIterB=1 readsPerIterB=1 */


/* iter 15 */

/*  grEndMfmaIndex:4, lwStartMfmaIndex:14, lwEndMfmaIndex:14  */
/*  numMfmaForLR:0, barrierMfmaIndex:15, LocalWritePerMfma:16.000 */
/*  mfmaIndex:15  */
s_waitcnt lgkmcnt(0)                               // lgkmcnt=0 vmcnt=-13wait for local write
s_barrier
_ds_load_b64 v[vgprValuA_X0_I0+0:vgprValuA_X0_I0+0+1], v[vgprLocalReadAddrA] offset:0 // L -> Reg lro=0 swapByteOffset=0 ti=16 vIdx=0 rIdx=0 oIdx=0 buffer=0 iui=0
v_mfma_f64_16x16x4_f64 v[0+0:7+0], v[vgprG2LB+62+0:vgprG2LB+62+0+1], v[vgprValuA_X15_I0+0+0+0:vgprValuA_X15_I0+0+0+0+1], v[0:7]
_buffer_load_b64 v[vgprG2LB1+0:vgprG2LB1+0+1], v[vgprGlobalReadOffsetB+0], s[sgprSrdB:sgprSrdB+3], 0, offen offset:0 // G -> Reg 0_0_0_0
_buffer_load_b64 v[vgprG2LB1+2:vgprG2LB1+2+1], v[vgprGlobalReadOffsetB+1], s[sgprSrdB:sgprSrdB+3], 0, offen offset:0 // G -> Reg 0_0_1_0
_buffer_load_b64 v[vgprG2LB1+4:vgprG2LB1+4+1], v[vgprGlobalReadOffsetB+2], s[sgprSrdB:sgprSrdB+3], 0, offen offset:0 // G -> Reg 0_0_2_0
_buffer_load_b64 v[vgprG2LB1+6:vgprG2LB1+6+1], v[vgprGlobalReadOffsetB+3], s[sgprSrdB:sgprSrdB+3], 0, offen offset:0 // G -> Reg 0_0_3_0
_buffer_load_b64 v[vgprG2LB1+8:vgprG2LB1+8+1], v[vgprGlobalReadOffsetB+4], s[sgprSrdB:sgprSrdB+3], 0, offen offset:0 // G -> Reg 0_0_4_0
_buffer_load_b64 v[vgprG2LB1+10:vgprG2LB1+10+1], v[vgprGlobalReadOffsetB+5], s[sgprSrdB:sgprSrdB+3], 0, offen offset:0 // G -> Reg 0_0_5_0
_buffer_load_b64 v[vgprG2LB1+12:vgprG2LB1+12+1], v[vgprGlobalReadOffsetB+6], s[sgprSrdB:sgprSrdB+3], 0, offen offset:0 // G -> Reg 0_0_6_0
_buffer_load_b64 v[vgprG2LB1+14:vgprG2LB1+14+1], v[vgprGlobalReadOffsetB+7], s[sgprSrdB:sgprSrdB+3], 0, offen offset:0 // G -> Reg 0_0_7_0
_buffer_load_b64 v[vgprG2LB1+16:vgprG2LB1+16+1], v[vgprGlobalReadOffsetB+8], s[sgprSrdB:sgprSrdB+3], 0, offen offset:0 // G -> Reg 0_0_8_0
_buffer_load_b64 v[vgprG2LB1+18:vgprG2LB1+18+1], v[vgprGlobalReadOffsetB+9], s[sgprSrdB:sgprSrdB+3], 0, offen offset:0 // G -> Reg 0_0_9_0
_buffer_load_b64 v[vgprG2LB1+20:vgprG2LB1+20+1], v[vgprGlobalReadOffsetB+10], s[sgprSrdB:sgprSrdB+3], 0, offen offset:0 // G -> Reg 0_0_10_0
_buffer_load_b64 v[vgprG2LB1+22:vgprG2LB1+22+1], v[vgprGlobalReadOffsetB+11], s[sgprSrdB:sgprSrdB+3], 0, offen offset:0 // G -> Reg 0_0_11_0
_buffer_load_b64 v[vgprG2LB1+24:vgprG2LB1+24+1], v[vgprGlobalReadOffsetB+12], s[sgprSrdB:sgprSrdB+3], 0, offen offset:0 // G -> Reg 0_0_12_0
_buffer_load_b64 v[vgprG2LB1+26:vgprG2LB1+26+1], v[vgprGlobalReadOffsetB+13], s[sgprSrdB:sgprSrdB+3], 0, offen offset:0 // G -> Reg 0_0_13_0
_buffer_load_b64 v[vgprG2LB1+28:vgprG2LB1+28+1], v[vgprGlobalReadOffsetB+14], s[sgprSrdB:sgprSrdB+3], 0, offen offset:0 // G -> Reg 0_0_14_0
_buffer_load_b64 v[vgprG2LB1+30:vgprG2LB1+30+1], v[vgprGlobalReadOffsetB+15], s[sgprSrdB:sgprSrdB+3], 0, offen offset:0 // G -> Reg 0_0_15_0


/******************************************/
/* Unrolled Loop - End 2/2 (final)        */
/******************************************/


/* closeLoop loopL finalLoop=1 tailLoop=0 */
s_sub_u32 s[sgprLoopCounterL], s[sgprLoopCounterL], 1 // dec counterL
s_cmp_eq_i32 s[sgprLoopCounterL], 0x2              // counterL==2
s_cbranch_scc0 LoopBeginL_1                        // restart LoopL
LoopEndL_evenexit_4: // unroll loop eveniter exit
s_branch LoopEndL_2                                // exit unroll loopL (and skip second exit code)
LoopEndL_oddexit_3: // unroll loop odditer exit

/* Select high bank of LDS */
LoopEndL_2:


/* Before NLL: Check VGPR.checkin for INT8 LW */


/******************************************/
/* Ord. NoGlobalLoadLoop - Begin                                      */
/******************************************/


s_and_b32 s10, s[sgprOrigLoopCounter], 1           // test if OrigLoopCounter is Odd ?
s_cbranch_scc0 label_0017                          // Skip odd code if OrigLoopCounter is Even


/* iter 0 */

s_waitcnt vmcnt(47)                                // lgkmcnt=-1 vmcnt=47global read wait for DirectToVgpr

/*  grEndMfmaIndex:4, lwStartMfmaIndex:14, lwEndMfmaIndex:14  */
/*  numMfmaForLR:0, barrierMfmaIndex:15, LocalWritePerMfma:16.000 */
/*  mfmaIndex:0  */
_ds_load_b64 v[vgprValuA_X1_I0+0:vgprValuA_X1_I0+0+1], v[vgprLocalReadAddrA] offset:32 // L -> Reg lro=4 swapByteOffset=0 ti=16 vIdx=0 rIdx=0 oIdx=0 buffer=1 iui=0
/* localReadsVacancy: latencyLeft 3 */
_ds_load_b64 v[vgprValuA_X2_I0+0:vgprValuA_X2_I0+0+1], v[vgprLocalReadAddrA] offset:64 // L -> Reg lro=8 swapByteOffset=0 ti=16 vIdx=0 rIdx=0 oIdx=0 buffer=2 iui=0
s_waitcnt lgkmcnt(2)                               // lgkmcnt=0 vmcnt=-1wait for prior local read local write old=0, new=1 newLW=0 newLR=1
v_mfma_f64_16x16x4_f64 v[0+0:7+0], v[vgprG2LB+32+0:vgprG2LB+32+0+1], v[vgprValuA_X0_I0+0+0+0:vgprValuA_X0_I0+0+0+0+1], v[0:7]
/* numPrefetchIter=0 */
/* dataAtIterA=-1 numReadsIterA=1 skipReadsIterA=1 readsPerIterA=1 */
/* dataAtIterB=-1 numReadsIterB=1 skipReadsIterB=1 readsPerIterB=1 */


/* iter 1 */

s_waitcnt vmcnt(46)                                // lgkmcnt=-1 vmcnt=46global read wait for DirectToVgpr

/*  grEndMfmaIndex:4, lwStartMfmaIndex:14, lwEndMfmaIndex:14  */
/*  numMfmaForLR:0, barrierMfmaIndex:15, LocalWritePerMfma:16.000 */
/*  mfmaIndex:1  */
/* localReadsVacancy: latencyLeft 5 */
_ds_load_b64 v[vgprValuA_X3_I0+0:vgprValuA_X3_I0+0+1], v[vgprLocalReadAddrA] offset:96 // L -> Reg lro=12 swapByteOffset=0 ti=16 vIdx=0 rIdx=0 oIdx=0 buffer=3 iui=0
_ds_load_b64 v[vgprValuA_X4_I0+0:vgprValuA_X4_I0+0+1], v[vgprLocalReadAddrA] offset:128 // L -> Reg lro=16 swapByteOffset=0 ti=16 vIdx=0 rIdx=0 oIdx=0 buffer=4 iui=0

/* global read inc A loopL */
s_add_u32 s[sgprSrdA+0], s[sgprSrdA+0], s[sgprGlobalReadIncsA+0] // gra SRD += inc(lower)
s_addc_u32  s[sgprSrdA+1], s[sgprSrdA+1], 0        // gra SRD += inc(upper)
s_sub_u32 s[sgprShadowLimitA+0], s[sgprShadowLimitA+0], s[sgprGlobalReadIncsA+0] // limit -= inc)
s_waitcnt lgkmcnt(3)                               // lgkmcnt=0 vmcnt=-1wait for prior local read local write old=1, new=1 newLW=0 newLR=0
v_mfma_f64_16x16x4_f64 v[0+0:7+0], v[vgprG2LB+34+0:vgprG2LB+34+0+1], v[vgprValuA_X1_I0+0+0+0:vgprValuA_X1_I0+0+0+0+1], v[0:7]
/* numPrefetchIter=0 */
/* dataAtIterA=0 numReadsIterA=2 skipReadsIterA=1 readsPerIterA=1 */
/* dataAtIterB=0 numReadsIterB=2 skipReadsIterB=1 readsPerIterB=1 */


/* iter 2 */

s_waitcnt vmcnt(45)                                // lgkmcnt=-1 vmcnt=45global read wait for DirectToVgpr

/*  grEndMfmaIndex:4, lwStartMfmaIndex:14, lwEndMfmaIndex:14  */
/*  numMfmaForLR:0, barrierMfmaIndex:15, LocalWritePerMfma:16.000 */
/*  mfmaIndex:2  */
/* localReadsVacancy: latencyLeft 5 */
_ds_load_b64 v[vgprValuA_X5_I0+0:vgprValuA_X5_I0+0+1], v[vgprLocalReadAddrA] offset:160 // L -> Reg lro=20 swapByteOffset=0 ti=16 vIdx=0 rIdx=0 oIdx=0 buffer=5 iui=0
_ds_load_b64 v[vgprValuA_X6_I0+0:vgprValuA_X6_I0+0+1], v[vgprLocalReadAddrA] offset:192 // L -> Reg lro=24 swapByteOffset=0 ti=16 vIdx=0 rIdx=0 oIdx=0 buffer=6 iui=0
s_subb_u32 s[sgprShadowLimitA+1], s[sgprShadowLimitA+1], 0 // limit -= inc)
s_cmp_eq_u32 s[sgprShadowLimitA+1], 0              // are we within 2^32?
s_cmov_b32 s[sgprSrdA+2], s[sgprShadowLimitA+0]    // Move shadow to real if we are within 2^32
s_waitcnt lgkmcnt(4)                               // lgkmcnt=0 vmcnt=-1wait for prior local read local write old=1, new=1 newLW=0 newLR=0
v_mfma_f64_16x16x4_f64 v[0+0:7+0], v[vgprG2LB+36+0:vgprG2LB+36+0+1], v[vgprValuA_X2_I0+0+0+0:vgprValuA_X2_I0+0+0+0+1], v[0:7]
/* numPrefetchIter=0 */
/* dataAtIterA=1 numReadsIterA=3 skipReadsIterA=1 readsPerIterA=1 */
/* dataAtIterB=1 numReadsIterB=3 skipReadsIterB=1 readsPerIterB=1 */


/* iter 3 */

s_waitcnt vmcnt(44)                                // lgkmcnt=-1 vmcnt=44global read wait for DirectToVgpr

/*  grEndMfmaIndex:4, lwStartMfmaIndex:14, lwEndMfmaIndex:14  */
/*  numMfmaForLR:0, barrierMfmaIndex:15, LocalWritePerMfma:16.000 */
/*  mfmaIndex:3  */
/* localReadsVacancy: latencyLeft 5 */
_ds_load_b64 v[vgprValuA_X7_I0+0:vgprValuA_X7_I0+0+1], v[vgprLocalReadAddrA] offset:224 // L -> Reg lro=28 swapByteOffset=0 ti=16 vIdx=0 rIdx=0 oIdx=0 buffer=7 iui=0
_ds_load_b64 v[vgprValuA_X8_I0+0:vgprValuA_X8_I0+0+1], v[vgprLocalReadAddrA] offset:256 // L -> Reg lro=32 swapByteOffset=0 ti=16 vIdx=0 rIdx=0 oIdx=0 buffer=8 iui=0

/* global read inc B loopL */
s_add_u32 s[sgprSrdB+0], s[sgprSrdB+0], s[sgprGlobalReadIncsB+0] // gra SRD += inc(lower)
s_addc_u32  s[sgprSrdB+1], s[sgprSrdB+1], 0        // gra SRD += inc(upper)
s_sub_u32 s[sgprShadowLimitB+0], s[sgprShadowLimitB+0], s[sgprGlobalReadIncsB+0] // limit -= inc)
s_waitcnt lgkmcnt(5)                               // lgkmcnt=0 vmcnt=-1wait for prior local read local write old=1, new=1 newLW=0 newLR=0
v_mfma_f64_16x16x4_f64 v[0+0:7+0], v[vgprG2LB+38+0:vgprG2LB+38+0+1], v[vgprValuA_X3_I0+0+0+0:vgprValuA_X3_I0+0+0+0+1], v[0:7]
/* numPrefetchIter=0 */
/* dataAtIterA=2 numReadsIterA=4 skipReadsIterA=1 readsPerIterA=1 */
/* dataAtIterB=2 numReadsIterB=4 skipReadsIterB=1 readsPerIterB=1 */


/* iter 4 */

s_waitcnt vmcnt(43)                                // lgkmcnt=-1 vmcnt=43global read wait for DirectToVgpr

/*  grEndMfmaIndex:4, lwStartMfmaIndex:14, lwEndMfmaIndex:14  */
/*  numMfmaForLR:0, barrierMfmaIndex:15, LocalWritePerMfma:16.000 */
/*  mfmaIndex:4  */
/* localReadsVacancy: latencyLeft 5 */
_ds_load_b64 v[vgprValuA_X9_I0+0:vgprValuA_X9_I0+0+1], v[vgprLocalReadAddrA] offset:288 // L -> Reg lro=36 swapByteOffset=0 ti=16 vIdx=0 rIdx=0 oIdx=0 buffer=9 iui=0
_ds_load_b64 v[vgprValuA_X10_I0+0:vgprValuA_X10_I0+0+1], v[vgprLocalReadAddrA] offset:320 // L -> Reg lro=40 swapByteOffset=0 ti=16 vIdx=0 rIdx=0 oIdx=0 buffer=10 iui=0
s_subb_u32 s[sgprShadowLimitB+1], s[sgprShadowLimitB+1], 0 // limit -= inc)
s_cmp_eq_u32 s[sgprShadowLimitB+1], 0              // are we within 2^32?
s_cmov_b32 s[sgprSrdB+2], s[sgprShadowLimitB+0]    // Move shadow to real if we are within 2^32
s_waitcnt lgkmcnt(6)                               // lgkmcnt=0 vmcnt=-1wait for prior local read local write old=1, new=1 newLW=0 newLR=0
v_mfma_f64_16x16x4_f64 v[0+0:7+0], v[vgprG2LB+40+0:vgprG2LB+40+0+1], v[vgprValuA_X4_I0+0+0+0:vgprValuA_X4_I0+0+0+0+1], v[0:7]
/* numPrefetchIter=0 */
/* dataAtIterA=3 numReadsIterA=5 skipReadsIterA=1 readsPerIterA=1 */
/* dataAtIterB=3 numReadsIterB=5 skipReadsIterB=1 readsPerIterB=1 */


/* iter 5 */

s_waitcnt vmcnt(42)                                // lgkmcnt=-1 vmcnt=42global read wait for DirectToVgpr

/*  grEndMfmaIndex:4, lwStartMfmaIndex:14, lwEndMfmaIndex:14  */
/*  numMfmaForLR:0, barrierMfmaIndex:15, LocalWritePerMfma:16.000 */
/*  mfmaIndex:5  */
/* localReadsVacancy: latencyLeft 5 */
_ds_load_b64 v[vgprValuA_X11_I0+0:vgprValuA_X11_I0+0+1], v[vgprLocalReadAddrA] offset:352 // L -> Reg lro=44 swapByteOffset=0 ti=16 vIdx=0 rIdx=0 oIdx=0 buffer=11 iui=0
_ds_load_b64 v[vgprValuA_X12_I0+0:vgprValuA_X12_I0+0+1], v[vgprLocalReadAddrA] offset:384 // L -> Reg lro=48 swapByteOffset=0 ti=16 vIdx=0 rIdx=0 oIdx=0 buffer=12 iui=0
s_waitcnt lgkmcnt(7)                               // lgkmcnt=0 vmcnt=-1wait for prior local read local write old=1, new=1 newLW=0 newLR=0
v_mfma_f64_16x16x4_f64 v[0+0:7+0], v[vgprG2LB+42+0:vgprG2LB+42+0+1], v[vgprValuA_X5_I0+0+0+0:vgprValuA_X5_I0+0+0+0+1], v[0:7]
/* numPrefetchIter=0 */
/* dataAtIterA=4 numReadsIterA=6 skipReadsIterA=1 readsPerIterA=1 */
/* dataAtIterB=4 numReadsIterB=6 skipReadsIterB=1 readsPerIterB=1 */


/* iter 6 */

s_waitcnt vmcnt(41)                                // lgkmcnt=-1 vmcnt=41global read wait for DirectToVgpr

/*  grEndMfmaIndex:4, lwStartMfmaIndex:14, lwEndMfmaIndex:14  */
/*  numMfmaForLR:0, barrierMfmaIndex:15, LocalWritePerMfma:16.000 */
/*  mfmaIndex:6  */
/* localReadsVacancy: latencyLeft 5 */
_ds_load_b64 v[vgprValuA_X13_I0+0:vgprValuA_X13_I0+0+1], v[vgprLocalReadAddrA] offset:416 // L -> Reg lro=52 swapByteOffset=0 ti=16 vIdx=0 rIdx=0 oIdx=0 buffer=13 iui=0
_ds_load_b64 v[vgprValuA_X14_I0+0:vgprValuA_X14_I0+0+1], v[vgprLocalReadAddrA] offset:448 // L -> Reg lro=56 swapByteOffset=0 ti=16 vIdx=0 rIdx=0 oIdx=0 buffer=14 iui=0
s_waitcnt lgkmcnt(8)                               // lgkmcnt=0 vmcnt=-1wait for prior local read local write old=1, new=1 newLW=0 newLR=0
v_mfma_f64_16x16x4_f64 v[0+0:7+0], v[vgprG2LB+44+0:vgprG2LB+44+0+1], v[vgprValuA_X6_I0+0+0+0:vgprValuA_X6_I0+0+0+0+1], v[0:7]
/* numPrefetchIter=0 */
/* dataAtIterA=5 numReadsIterA=7 skipReadsIterA=1 readsPerIterA=1 */
/* dataAtIterB=5 numReadsIterB=7 skipReadsIterB=1 readsPerIterB=1 */


/* iter 7 */

s_waitcnt vmcnt(40)                                // lgkmcnt=-1 vmcnt=40global read wait for DirectToVgpr

/*  grEndMfmaIndex:4, lwStartMfmaIndex:14, lwEndMfmaIndex:14  */
/*  numMfmaForLR:0, barrierMfmaIndex:15, LocalWritePerMfma:16.000 */
/*  mfmaIndex:7  */
/* localReadsVacancy: latencyLeft 5 */
_ds_load_b64 v[vgprValuA_X15_I0+0:vgprValuA_X15_I0+0+1], v[vgprLocalReadAddrA] offset:480 // L -> Reg lro=60 swapByteOffset=0 ti=16 vIdx=0 rIdx=0 oIdx=0 buffer=15 iui=0
s_waitcnt lgkmcnt(8)                               // lgkmcnt=0 vmcnt=-1wait for prior local read local write old=1, new=1 newLW=0 newLR=0
v_mfma_f64_16x16x4_f64 v[0+0:7+0], v[vgprG2LB+46+0:vgprG2LB+46+0+1], v[vgprValuA_X7_I0+0+0+0:vgprValuA_X7_I0+0+0+0+1], v[0:7]
/* numPrefetchIter=0 */
/* dataAtIterA=6 numReadsIterA=8 skipReadsIterA=1 readsPerIterA=1 */
/* dataAtIterB=6 numReadsIterB=8 skipReadsIterB=1 readsPerIterB=1 */


/* iter 8 */

s_waitcnt vmcnt(39)                                // lgkmcnt=-1 vmcnt=39global read wait for DirectToVgpr

/*  grEndMfmaIndex:4, lwStartMfmaIndex:14, lwEndMfmaIndex:14  */
/*  numMfmaForLR:0, barrierMfmaIndex:15, LocalWritePerMfma:16.000 */
/*  mfmaIndex:8  */
/* localReadsVacancy: latencyLeft 5 */
s_waitcnt lgkmcnt(7)                               // lgkmcnt=0 vmcnt=-1wait for prior local read local write old=1, new=1 newLW=0 newLR=0
v_mfma_f64_16x16x4_f64 v[0+0:7+0], v[vgprG2LB+48+0:vgprG2LB+48+0+1], v[vgprValuA_X8_I0+0+0+0:vgprValuA_X8_I0+0+0+0+1], v[0:7]
/* numPrefetchIter=0 */
/* dataAtIterA=7 numReadsIterA=9 skipReadsIterA=1 readsPerIterA=1 */
/* dataAtIterB=7 numReadsIterB=9 skipReadsIterB=1 readsPerIterB=1 */


/* iter 9 */

s_waitcnt vmcnt(38)                                // lgkmcnt=-1 vmcnt=38global read wait for DirectToVgpr

/*  grEndMfmaIndex:4, lwStartMfmaIndex:14, lwEndMfmaIndex:14  */
/*  numMfmaForLR:0, barrierMfmaIndex:15, LocalWritePerMfma:16.000 */
/*  mfmaIndex:9  */
/* localReadsVacancy: latencyLeft 5 */
s_waitcnt lgkmcnt(6)                               // lgkmcnt=0 vmcnt=-1wait for prior local read local write old=1, new=1 newLW=0 newLR=0
v_mfma_f64_16x16x4_f64 v[0+0:7+0], v[vgprG2LB+50+0:vgprG2LB+50+0+1], v[vgprValuA_X9_I0+0+0+0:vgprValuA_X9_I0+0+0+0+1], v[0:7]
/* numPrefetchIter=0 */
/* dataAtIterA=8 numReadsIterA=10 skipReadsIterA=1 readsPerIterA=1 */
/* dataAtIterB=8 numReadsIterB=10 skipReadsIterB=1 readsPerIterB=1 */


/* iter 10 */

s_waitcnt vmcnt(37)                                // lgkmcnt=-1 vmcnt=37global read wait for DirectToVgpr

/*  grEndMfmaIndex:4, lwStartMfmaIndex:14, lwEndMfmaIndex:14  */
/*  numMfmaForLR:0, barrierMfmaIndex:15, LocalWritePerMfma:16.000 */
/*  mfmaIndex:10  */
/* localReadsVacancy: latencyLeft 5 */
s_waitcnt lgkmcnt(5)                               // lgkmcnt=0 vmcnt=-1wait for prior local read local write old=1, new=1 newLW=0 newLR=0
v_mfma_f64_16x16x4_f64 v[0+0:7+0], v[vgprG2LB+52+0:vgprG2LB+52+0+1], v[vgprValuA_X10_I0+0+0+0:vgprValuA_X10_I0+0+0+0+1], v[0:7]
/* numPrefetchIter=0 */
/* dataAtIterA=9 numReadsIterA=11 skipReadsIterA=1 readsPerIterA=1 */
/* dataAtIterB=9 numReadsIterB=11 skipReadsIterB=1 readsPerIterB=1 */


/* iter 11 */

s_waitcnt vmcnt(36)                                // lgkmcnt=-1 vmcnt=36global read wait for DirectToVgpr

/*  grEndMfmaIndex:4, lwStartMfmaIndex:14, lwEndMfmaIndex:14  */
/*  numMfmaForLR:0, barrierMfmaIndex:15, LocalWritePerMfma:16.000 */
/*  mfmaIndex:11  */
/* localReadsVacancy: latencyLeft 5 */
s_waitcnt lgkmcnt(4)                               // lgkmcnt=0 vmcnt=-1wait for prior local read local write old=1, new=1 newLW=0 newLR=0
v_mfma_f64_16x16x4_f64 v[0+0:7+0], v[vgprG2LB+54+0:vgprG2LB+54+0+1], v[vgprValuA_X11_I0+0+0+0:vgprValuA_X11_I0+0+0+0+1], v[0:7]
/* numPrefetchIter=0 */
/* dataAtIterA=10 numReadsIterA=12 skipReadsIterA=1 readsPerIterA=1 */
/* dataAtIterB=10 numReadsIterB=12 skipReadsIterB=1 readsPerIterB=1 */


/* iter 12 */

s_waitcnt vmcnt(35)                                // lgkmcnt=-1 vmcnt=35global read wait for DirectToVgpr

/*  grEndMfmaIndex:4, lwStartMfmaIndex:14, lwEndMfmaIndex:14  */
/*  numMfmaForLR:0, barrierMfmaIndex:15, LocalWritePerMfma:16.000 */
/*  mfmaIndex:12  */
/* localReadsVacancy: latencyLeft 5 */
s_waitcnt lgkmcnt(3)                               // lgkmcnt=0 vmcnt=-1wait for prior local read local write old=1, new=1 newLW=0 newLR=0
v_mfma_f64_16x16x4_f64 v[0+0:7+0], v[vgprG2LB+56+0:vgprG2LB+56+0+1], v[vgprValuA_X12_I0+0+0+0:vgprValuA_X12_I0+0+0+0+1], v[0:7]
/* numPrefetchIter=0 */
/* dataAtIterA=11 numReadsIterA=13 skipReadsIterA=1 readsPerIterA=1 */
/* dataAtIterB=11 numReadsIterB=13 skipReadsIterB=1 readsPerIterB=1 */


/* iter 13 */

s_waitcnt vmcnt(34)                                // lgkmcnt=-1 vmcnt=34global read wait for DirectToVgpr

/*  grEndMfmaIndex:4, lwStartMfmaIndex:14, lwEndMfmaIndex:14  */
/*  numMfmaForLR:0, barrierMfmaIndex:15, LocalWritePerMfma:16.000 */
/*  mfmaIndex:13  */
/* localReadsVacancy: latencyLeft 5 */
/* 1 LDS buffer: read-sync-write */
s_waitcnt lgkmcnt(0)                               // 
s_barrier                                          // 
s_waitcnt lgkmcnt(2)                               // lgkmcnt=0 vmcnt=-1wait for prior local read local write old=1, new=1 newLW=0 newLR=0
v_mfma_f64_16x16x4_f64 v[0+0:7+0], v[vgprG2LB+58+0:vgprG2LB+58+0+1], v[vgprValuA_X13_I0+0+0+0:vgprValuA_X13_I0+0+0+0+1], v[0:7]
/* numPrefetchIter=0 */
/* dataAtIterA=12 numReadsIterA=14 skipReadsIterA=1 readsPerIterA=1 */
/* dataAtIterB=12 numReadsIterB=14 skipReadsIterB=1 readsPerIterB=1 */


/* iter 14 (reset local read pointers iteration)  (swap and reset local write pointers iteration)  (swap local read pointers iteration)  */

s_waitcnt vmcnt(33)                                // lgkmcnt=-1 vmcnt=33global read wait for DirectToVgpr

/*  grEndMfmaIndex:4, lwStartMfmaIndex:14, lwEndMfmaIndex:14  */
/*  numMfmaForLR:0, barrierMfmaIndex:15, LocalWritePerMfma:16.000 */
/*  mfmaIndex:14  */
/* sched write - iter 14 writesPerItem=1 */
s_waitcnt vmcnt(0)                                 // lgkmcnt=-1 vmcnt=0wait for global read before writing to local
_ds_store_b64 v[vgprLocalWriteAddrA], v[vgprG2LA+0:vgprG2LA+0+1] offset:0 // lwoA_0_0_0_0 = (0*LSCA)*(MT0I+PAD) + (0*LSPA) = 0
/* sched write - iter 14 writesPerItem=1 */
s_waitcnt vmcnt(0)                                 // lgkmcnt=-1 vmcnt=0wait for global read before writing to local
_ds_store_b64 v[vgprLocalWriteAddrA], v[vgprG2LA+2:vgprG2LA+2+1] offset:520 // lwoA_0_0_1_0 = (0*LSCA)*(MT0I+PAD) + (1*LSPA) = 520
/* sched write - iter 14 writesPerItem=1 */
s_waitcnt vmcnt(0)                                 // lgkmcnt=-1 vmcnt=0wait for global read before writing to local
_ds_store_b64 v[vgprLocalWriteAddrA], v[vgprG2LA+4:vgprG2LA+4+1] offset:1040 // lwoA_0_0_2_0 = (0*LSCA)*(MT0I+PAD) + (2*LSPA) = 1040
/* sched write - iter 14 writesPerItem=1 */
s_waitcnt vmcnt(0)                                 // lgkmcnt=-1 vmcnt=0wait for global read before writing to local
_ds_store_b64 v[vgprLocalWriteAddrA], v[vgprG2LA+6:vgprG2LA+6+1] offset:1560 // lwoA_0_0_3_0 = (0*LSCA)*(MT0I+PAD) + (3*LSPA) = 1560
/* sched write - iter 14 writesPerItem=1 */
s_waitcnt vmcnt(0)                                 // lgkmcnt=-1 vmcnt=0wait for global read before writing to local
_ds_store_b64 v[vgprLocalWriteAddrA], v[vgprG2LA+8:vgprG2LA+8+1] offset:2080 // lwoA_0_0_4_0 = (0*LSCA)*(MT0I+PAD) + (4*LSPA) = 2080
/* sched write - iter 14 writesPerItem=1 */
s_waitcnt vmcnt(0)                                 // lgkmcnt=-1 vmcnt=0wait for global read before writing to local
_ds_store_b64 v[vgprLocalWriteAddrA], v[vgprG2LA+10:vgprG2LA+10+1] offset:2600 // lwoA_0_0_5_0 = (0*LSCA)*(MT0I+PAD) + (5*LSPA) = 2600
/* sched write - iter 14 writesPerItem=1 */
s_waitcnt vmcnt(0)                                 // lgkmcnt=-1 vmcnt=0wait for global read before writing to local
_ds_store_b64 v[vgprLocalWriteAddrA], v[vgprG2LA+12:vgprG2LA+12+1] offset:3120 // lwoA_0_0_6_0 = (0*LSCA)*(MT0I+PAD) + (6*LSPA) = 3120
/* sched write - iter 14 writesPerItem=1 */
s_waitcnt vmcnt(0)                                 // lgkmcnt=-1 vmcnt=0wait for global read before writing to local
_ds_store_b64 v[vgprLocalWriteAddrA], v[vgprG2LA+14:vgprG2LA+14+1] offset:3640 // lwoA_0_0_7_0 = (0*LSCA)*(MT0I+PAD) + (7*LSPA) = 3640
/* sched write - iter 14 writesPerItem=1 */
s_waitcnt vmcnt(0)                                 // lgkmcnt=-1 vmcnt=0wait for global read before writing to local
_ds_store_b64 v[vgprLocalWriteAddrA], v[vgprG2LA+16:vgprG2LA+16+1] offset:4160 // lwoA_0_0_8_0 = (0*LSCA)*(MT0I+PAD) + (8*LSPA) = 4160
/* sched write - iter 14 writesPerItem=1 */
s_waitcnt vmcnt(0)                                 // lgkmcnt=-1 vmcnt=0wait for global read before writing to local
_ds_store_b64 v[vgprLocalWriteAddrA], v[vgprG2LA+18:vgprG2LA+18+1] offset:4680 // lwoA_0_0_9_0 = (0*LSCA)*(MT0I+PAD) + (9*LSPA) = 4680
/* sched write - iter 14 writesPerItem=1 */
s_waitcnt vmcnt(0)                                 // lgkmcnt=-1 vmcnt=0wait for global read before writing to local
_ds_store_b64 v[vgprLocalWriteAddrA], v[vgprG2LA+20:vgprG2LA+20+1] offset:5200 // lwoA_0_0_10_0 = (0*LSCA)*(MT0I+PAD) + (10*LSPA) = 5200
/* sched write - iter 14 writesPerItem=1 */
s_waitcnt vmcnt(0)                                 // lgkmcnt=-1 vmcnt=0wait for global read before writing to local
_ds_store_b64 v[vgprLocalWriteAddrA], v[vgprG2LA+22:vgprG2LA+22+1] offset:5720 // lwoA_0_0_11_0 = (0*LSCA)*(MT0I+PAD) + (11*LSPA) = 5720
/* sched write - iter 14 writesPerItem=1 */
s_waitcnt vmcnt(0)                                 // lgkmcnt=-1 vmcnt=0wait for global read before writing to local
_ds_store_b64 v[vgprLocalWriteAddrA], v[vgprG2LA+24:vgprG2LA+24+1] offset:6240 // lwoA_0_0_12_0 = (0*LSCA)*(MT0I+PAD) + (12*LSPA) = 6240
/* sched write - iter 14 writesPerItem=1 */
s_waitcnt vmcnt(0)                                 // lgkmcnt=-1 vmcnt=0wait for global read before writing to local
_ds_store_b64 v[vgprLocalWriteAddrA], v[vgprG2LA+26:vgprG2LA+26+1] offset:6760 // lwoA_0_0_13_0 = (0*LSCA)*(MT0I+PAD) + (13*LSPA) = 6760
/* sched write - iter 14 writesPerItem=1 */
s_waitcnt vmcnt(0)                                 // lgkmcnt=-1 vmcnt=0wait for global read before writing to local
_ds_store_b64 v[vgprLocalWriteAddrA], v[vgprG2LA+28:vgprG2LA+28+1] offset:7280 // lwoA_0_0_14_0 = (0*LSCA)*(MT0I+PAD) + (14*LSPA) = 7280
/* sched write - iter 14 writesPerItem=1 */
s_waitcnt vmcnt(0)                                 // lgkmcnt=-1 vmcnt=0wait for global read before writing to local
_ds_store_b64 v[vgprLocalWriteAddrA], v[vgprG2LA+30:vgprG2LA+30+1] offset:7800 // lwoA_0_0_15_0 = (0*LSCA)*(MT0I+PAD) + (15*LSPA) = 7800

/* local write swap offsets a */

/* local write swap offsets b */

/* local read swap offsets a */

/* local read swap offsets b */

/* local read init pointers a */

/* localReadInitPointers */

/* local read init pointers b */
s_waitcnt lgkmcnt(15)                              // lgkmcnt=0 vmcnt=-1wait for prior local read local write old=1, new=17 newLW=16 newLR=0
v_mfma_f64_16x16x4_f64 v[0+0:7+0], v[vgprG2LB+60+0:vgprG2LB+60+0+1], v[vgprValuA_X14_I0+0+0+0:vgprValuA_X14_I0+0+0+0+1], v[0:7]
/* numPrefetchIter=0 */
/* dataAtIterA=13 numReadsIterA=15 skipReadsIterA=1 readsPerIterA=1 */
/* dataAtIterB=13 numReadsIterB=15 skipReadsIterB=1 readsPerIterB=1 */


/* iter 15 */

/*  grEndMfmaIndex:4, lwStartMfmaIndex:14, lwEndMfmaIndex:14  */
/*  numMfmaForLR:0, barrierMfmaIndex:15, LocalWritePerMfma:16.000 */
/*  mfmaIndex:15  */
s_waitcnt lgkmcnt(0)                               // lgkmcnt=0 vmcnt=-13wait for local write
// Skip barrier: NumThreads=64
_ds_load_b64 v[vgprValuA_X0_I0+0:vgprValuA_X0_I0+0+1], v[vgprLocalReadAddrA] offset:0 // L -> Reg lro=0 swapByteOffset=0 ti=16 vIdx=0 rIdx=0 oIdx=0 buffer=0 iui=0
v_mfma_f64_16x16x4_f64 v[0+0:7+0], v[vgprG2LB+62+0:vgprG2LB+62+0+1], v[vgprValuA_X15_I0+0+0+0:vgprValuA_X15_I0+0+0+0+1], v[0:7]

s_branch label_0018                                // Skip even code
label_0017: // EvenStartNoGlobalLoadLoopOrd 


/* iter 0 */

s_waitcnt vmcnt(47)                                // lgkmcnt=-1 vmcnt=47global read wait for DirectToVgpr

/*  grEndMfmaIndex:4, lwStartMfmaIndex:14, lwEndMfmaIndex:14  */
/*  numMfmaForLR:0, barrierMfmaIndex:15, LocalWritePerMfma:16.000 */
/*  mfmaIndex:0  */
_ds_load_b64 v[vgprValuA_X1_I0+0:vgprValuA_X1_I0+0+1], v[vgprLocalReadAddrA] offset:32 // L -> Reg lro=4 swapByteOffset=0 ti=16 vIdx=0 rIdx=0 oIdx=0 buffer=1 iui=0
/* localReadsVacancy: latencyLeft 3 */
_ds_load_b64 v[vgprValuA_X2_I0+0:vgprValuA_X2_I0+0+1], v[vgprLocalReadAddrA] offset:64 // L -> Reg lro=8 swapByteOffset=0 ti=16 vIdx=0 rIdx=0 oIdx=0 buffer=2 iui=0
s_waitcnt lgkmcnt(2)                               // lgkmcnt=0 vmcnt=-1wait for prior local read local write old=0, new=1 newLW=0 newLR=1
v_mfma_f64_16x16x4_f64 v[0+0:7+0], v[vgprG2LB+0+0:vgprG2LB+0+0+1], v[vgprValuA_X0_I0+0+0+0:vgprValuA_X0_I0+0+0+0+1], v[0:7]
/* numPrefetchIter=0 */
/* dataAtIterA=-1 numReadsIterA=1 skipReadsIterA=1 readsPerIterA=1 */
/* dataAtIterB=-1 numReadsIterB=1 skipReadsIterB=1 readsPerIterB=1 */


/* iter 1 */

s_waitcnt vmcnt(46)                                // lgkmcnt=-1 vmcnt=46global read wait for DirectToVgpr

/*  grEndMfmaIndex:4, lwStartMfmaIndex:14, lwEndMfmaIndex:14  */
/*  numMfmaForLR:0, barrierMfmaIndex:15, LocalWritePerMfma:16.000 */
/*  mfmaIndex:1  */
/* localReadsVacancy: latencyLeft 5 */
_ds_load_b64 v[vgprValuA_X3_I0+0:vgprValuA_X3_I0+0+1], v[vgprLocalReadAddrA] offset:96 // L -> Reg lro=12 swapByteOffset=0 ti=16 vIdx=0 rIdx=0 oIdx=0 buffer=3 iui=0
_ds_load_b64 v[vgprValuA_X4_I0+0:vgprValuA_X4_I0+0+1], v[vgprLocalReadAddrA] offset:128 // L -> Reg lro=16 swapByteOffset=0 ti=16 vIdx=0 rIdx=0 oIdx=0 buffer=4 iui=0

/* global read inc A loopL */
s_add_u32 s[sgprSrdA+0], s[sgprSrdA+0], s[sgprGlobalReadIncsA+0] // gra SRD += inc(lower)
s_addc_u32  s[sgprSrdA+1], s[sgprSrdA+1], 0        // gra SRD += inc(upper)
s_sub_u32 s[sgprShadowLimitA+0], s[sgprShadowLimitA+0], s[sgprGlobalReadIncsA+0] // limit -= inc)
s_waitcnt lgkmcnt(3)                               // lgkmcnt=0 vmcnt=-1wait for prior local read local write old=1, new=1 newLW=0 newLR=0
v_mfma_f64_16x16x4_f64 v[0+0:7+0], v[vgprG2LB+2+0:vgprG2LB+2+0+1], v[vgprValuA_X1_I0+0+0+0:vgprValuA_X1_I0+0+0+0+1], v[0:7]
/* numPrefetchIter=0 */
/* dataAtIterA=0 numReadsIterA=2 skipReadsIterA=1 readsPerIterA=1 */
/* dataAtIterB=0 numReadsIterB=2 skipReadsIterB=1 readsPerIterB=1 */


/* iter 2 */

s_waitcnt vmcnt(45)                                // lgkmcnt=-1 vmcnt=45global read wait for DirectToVgpr

/*  grEndMfmaIndex:4, lwStartMfmaIndex:14, lwEndMfmaIndex:14  */
/*  numMfmaForLR:0, barrierMfmaIndex:15, LocalWritePerMfma:16.000 */
/*  mfmaIndex:2  */
/* localReadsVacancy: latencyLeft 5 */
_ds_load_b64 v[vgprValuA_X5_I0+0:vgprValuA_X5_I0+0+1], v[vgprLocalReadAddrA] offset:160 // L -> Reg lro=20 swapByteOffset=0 ti=16 vIdx=0 rIdx=0 oIdx=0 buffer=5 iui=0
_ds_load_b64 v[vgprValuA_X6_I0+0:vgprValuA_X6_I0+0+1], v[vgprLocalReadAddrA] offset:192 // L -> Reg lro=24 swapByteOffset=0 ti=16 vIdx=0 rIdx=0 oIdx=0 buffer=6 iui=0
s_subb_u32 s[sgprShadowLimitA+1], s[sgprShadowLimitA+1], 0 // limit -= inc)
s_cmp_eq_u32 s[sgprShadowLimitA+1], 0              // are we within 2^32?
s_cmov_b32 s[sgprSrdA+2], s[sgprShadowLimitA+0]    // Move shadow to real if we are within 2^32
s_waitcnt lgkmcnt(4)                               // lgkmcnt=0 vmcnt=-1wait for prior local read local write old=1, new=1 newLW=0 newLR=0
v_mfma_f64_16x16x4_f64 v[0+0:7+0], v[vgprG2LB+4+0:vgprG2LB+4+0+1], v[vgprValuA_X2_I0+0+0+0:vgprValuA_X2_I0+0+0+0+1], v[0:7]
/* numPrefetchIter=0 */
/* dataAtIterA=1 numReadsIterA=3 skipReadsIterA=1 readsPerIterA=1 */
/* dataAtIterB=1 numReadsIterB=3 skipReadsIterB=1 readsPerIterB=1 */


/* iter 3 */

s_waitcnt vmcnt(44)                                // lgkmcnt=-1 vmcnt=44global read wait for DirectToVgpr

/*  grEndMfmaIndex:4, lwStartMfmaIndex:14, lwEndMfmaIndex:14  */
/*  numMfmaForLR:0, barrierMfmaIndex:15, LocalWritePerMfma:16.000 */
/*  mfmaIndex:3  */
/* localReadsVacancy: latencyLeft 5 */
_ds_load_b64 v[vgprValuA_X7_I0+0:vgprValuA_X7_I0+0+1], v[vgprLocalReadAddrA] offset:224 // L -> Reg lro=28 swapByteOffset=0 ti=16 vIdx=0 rIdx=0 oIdx=0 buffer=7 iui=0
_ds_load_b64 v[vgprValuA_X8_I0+0:vgprValuA_X8_I0+0+1], v[vgprLocalReadAddrA] offset:256 // L -> Reg lro=32 swapByteOffset=0 ti=16 vIdx=0 rIdx=0 oIdx=0 buffer=8 iui=0

/* global read inc B loopL */
s_add_u32 s[sgprSrdB+0], s[sgprSrdB+0], s[sgprGlobalReadIncsB+0] // gra SRD += inc(lower)
s_addc_u32  s[sgprSrdB+1], s[sgprSrdB+1], 0        // gra SRD += inc(upper)
s_sub_u32 s[sgprShadowLimitB+0], s[sgprShadowLimitB+0], s[sgprGlobalReadIncsB+0] // limit -= inc)
s_waitcnt lgkmcnt(5)                               // lgkmcnt=0 vmcnt=-1wait for prior local read local write old=1, new=1 newLW=0 newLR=0
v_mfma_f64_16x16x4_f64 v[0+0:7+0], v[vgprG2LB+6+0:vgprG2LB+6+0+1], v[vgprValuA_X3_I0+0+0+0:vgprValuA_X3_I0+0+0+0+1], v[0:7]
/* numPrefetchIter=0 */
/* dataAtIterA=2 numReadsIterA=4 skipReadsIterA=1 readsPerIterA=1 */
/* dataAtIterB=2 numReadsIterB=4 skipReadsIterB=1 readsPerIterB=1 */


/* iter 4 */

s_waitcnt vmcnt(43)                                // lgkmcnt=-1 vmcnt=43global read wait for DirectToVgpr

/*  grEndMfmaIndex:4, lwStartMfmaIndex:14, lwEndMfmaIndex:14  */
/*  numMfmaForLR:0, barrierMfmaIndex:15, LocalWritePerMfma:16.000 */
/*  mfmaIndex:4  */
/* localReadsVacancy: latencyLeft 5 */
_ds_load_b64 v[vgprValuA_X9_I0+0:vgprValuA_X9_I0+0+1], v[vgprLocalReadAddrA] offset:288 // L -> Reg lro=36 swapByteOffset=0 ti=16 vIdx=0 rIdx=0 oIdx=0 buffer=9 iui=0
_ds_load_b64 v[vgprValuA_X10_I0+0:vgprValuA_X10_I0+0+1], v[vgprLocalReadAddrA] offset:320 // L -> Reg lro=40 swapByteOffset=0 ti=16 vIdx=0 rIdx=0 oIdx=0 buffer=10 iui=0
s_subb_u32 s[sgprShadowLimitB+1], s[sgprShadowLimitB+1], 0 // limit -= inc)
s_cmp_eq_u32 s[sgprShadowLimitB+1], 0              // are we within 2^32?
s_cmov_b32 s[sgprSrdB+2], s[sgprShadowLimitB+0]    // Move shadow to real if we are within 2^32
s_waitcnt lgkmcnt(6)                               // lgkmcnt=0 vmcnt=-1wait for prior local read local write old=1, new=1 newLW=0 newLR=0
v_mfma_f64_16x16x4_f64 v[0+0:7+0], v[vgprG2LB+8+0:vgprG2LB+8+0+1], v[vgprValuA_X4_I0+0+0+0:vgprValuA_X4_I0+0+0+0+1], v[0:7]
/* numPrefetchIter=0 */
/* dataAtIterA=3 numReadsIterA=5 skipReadsIterA=1 readsPerIterA=1 */
/* dataAtIterB=3 numReadsIterB=5 skipReadsIterB=1 readsPerIterB=1 */


/* iter 5 */

s_waitcnt vmcnt(42)                                // lgkmcnt=-1 vmcnt=42global read wait for DirectToVgpr

/*  grEndMfmaIndex:4, lwStartMfmaIndex:14, lwEndMfmaIndex:14  */
/*  numMfmaForLR:0, barrierMfmaIndex:15, LocalWritePerMfma:16.000 */
/*  mfmaIndex:5  */
/* localReadsVacancy: latencyLeft 5 */
_ds_load_b64 v[vgprValuA_X11_I0+0:vgprValuA_X11_I0+0+1], v[vgprLocalReadAddrA] offset:352 // L -> Reg lro=44 swapByteOffset=0 ti=16 vIdx=0 rIdx=0 oIdx=0 buffer=11 iui=0
_ds_load_b64 v[vgprValuA_X12_I0+0:vgprValuA_X12_I0+0+1], v[vgprLocalReadAddrA] offset:384 // L -> Reg lro=48 swapByteOffset=0 ti=16 vIdx=0 rIdx=0 oIdx=0 buffer=12 iui=0
s_waitcnt lgkmcnt(7)                               // lgkmcnt=0 vmcnt=-1wait for prior local read local write old=1, new=1 newLW=0 newLR=0
v_mfma_f64_16x16x4_f64 v[0+0:7+0], v[vgprG2LB+10+0:vgprG2LB+10+0+1], v[vgprValuA_X5_I0+0+0+0:vgprValuA_X5_I0+0+0+0+1], v[0:7]
/* numPrefetchIter=0 */
/* dataAtIterA=4 numReadsIterA=6 skipReadsIterA=1 readsPerIterA=1 */
/* dataAtIterB=4 numReadsIterB=6 skipReadsIterB=1 readsPerIterB=1 */


/* iter 6 */

s_waitcnt vmcnt(41)                                // lgkmcnt=-1 vmcnt=41global read wait for DirectToVgpr

/*  grEndMfmaIndex:4, lwStartMfmaIndex:14, lwEndMfmaIndex:14  */
/*  numMfmaForLR:0, barrierMfmaIndex:15, LocalWritePerMfma:16.000 */
/*  mfmaIndex:6  */
/* localReadsVacancy: latencyLeft 5 */
_ds_load_b64 v[vgprValuA_X13_I0+0:vgprValuA_X13_I0+0+1], v[vgprLocalReadAddrA] offset:416 // L -> Reg lro=52 swapByteOffset=0 ti=16 vIdx=0 rIdx=0 oIdx=0 buffer=13 iui=0
_ds_load_b64 v[vgprValuA_X14_I0+0:vgprValuA_X14_I0+0+1], v[vgprLocalReadAddrA] offset:448 // L -> Reg lro=56 swapByteOffset=0 ti=16 vIdx=0 rIdx=0 oIdx=0 buffer=14 iui=0
s_waitcnt lgkmcnt(8)                               // lgkmcnt=0 vmcnt=-1wait for prior local read local write old=1, new=1 newLW=0 newLR=0
v_mfma_f64_16x16x4_f64 v[0+0:7+0], v[vgprG2LB+12+0:vgprG2LB+12+0+1], v[vgprValuA_X6_I0+0+0+0:vgprValuA_X6_I0+0+0+0+1], v[0:7]
/* numPrefetchIter=0 */
/* dataAtIterA=5 numReadsIterA=7 skipReadsIterA=1 readsPerIterA=1 */
/* dataAtIterB=5 numReadsIterB=7 skipReadsIterB=1 readsPerIterB=1 */


/* iter 7 */

s_waitcnt vmcnt(40)                                // lgkmcnt=-1 vmcnt=40global read wait for DirectToVgpr

/*  grEndMfmaIndex:4, lwStartMfmaIndex:14, lwEndMfmaIndex:14  */
/*  numMfmaForLR:0, barrierMfmaIndex:15, LocalWritePerMfma:16.000 */
/*  mfmaIndex:7  */
/* localReadsVacancy: latencyLeft 5 */
_ds_load_b64 v[vgprValuA_X15_I0+0:vgprValuA_X15_I0+0+1], v[vgprLocalReadAddrA] offset:480 // L -> Reg lro=60 swapByteOffset=0 ti=16 vIdx=0 rIdx=0 oIdx=0 buffer=15 iui=0
s_waitcnt lgkmcnt(8)                               // lgkmcnt=0 vmcnt=-1wait for prior local read local write old=1, new=1 newLW=0 newLR=0
v_mfma_f64_16x16x4_f64 v[0+0:7+0], v[vgprG2LB+14+0:vgprG2LB+14+0+1], v[vgprValuA_X7_I0+0+0+0:vgprValuA_X7_I0+0+0+0+1], v[0:7]
/* numPrefetchIter=0 */
/* dataAtIterA=6 numReadsIterA=8 skipReadsIterA=1 readsPerIterA=1 */
/* dataAtIterB=6 numReadsIterB=8 skipReadsIterB=1 readsPerIterB=1 */


/* iter 8 */

s_waitcnt vmcnt(39)                                // lgkmcnt=-1 vmcnt=39global read wait for DirectToVgpr

/*  grEndMfmaIndex:4, lwStartMfmaIndex:14, lwEndMfmaIndex:14  */
/*  numMfmaForLR:0, barrierMfmaIndex:15, LocalWritePerMfma:16.000 */
/*  mfmaIndex:8  */
/* localReadsVacancy: latencyLeft 5 */
s_waitcnt lgkmcnt(7)                               // lgkmcnt=0 vmcnt=-1wait for prior local read local write old=1, new=1 newLW=0 newLR=0
v_mfma_f64_16x16x4_f64 v[0+0:7+0], v[vgprG2LB+16+0:vgprG2LB+16+0+1], v[vgprValuA_X8_I0+0+0+0:vgprValuA_X8_I0+0+0+0+1], v[0:7]
/* numPrefetchIter=0 */
/* dataAtIterA=7 numReadsIterA=9 skipReadsIterA=1 readsPerIterA=1 */
/* dataAtIterB=7 numReadsIterB=9 skipReadsIterB=1 readsPerIterB=1 */


/* iter 9 */

s_waitcnt vmcnt(38)                                // lgkmcnt=-1 vmcnt=38global read wait for DirectToVgpr

/*  grEndMfmaIndex:4, lwStartMfmaIndex:14, lwEndMfmaIndex:14  */
/*  numMfmaForLR:0, barrierMfmaIndex:15, LocalWritePerMfma:16.000 */
/*  mfmaIndex:9  */
/* localReadsVacancy: latencyLeft 5 */
s_waitcnt lgkmcnt(6)                               // lgkmcnt=0 vmcnt=-1wait for prior local read local write old=1, new=1 newLW=0 newLR=0
v_mfma_f64_16x16x4_f64 v[0+0:7+0], v[vgprG2LB+18+0:vgprG2LB+18+0+1], v[vgprValuA_X9_I0+0+0+0:vgprValuA_X9_I0+0+0+0+1], v[0:7]
/* numPrefetchIter=0 */
/* dataAtIterA=8 numReadsIterA=10 skipReadsIterA=1 readsPerIterA=1 */
/* dataAtIterB=8 numReadsIterB=10 skipReadsIterB=1 readsPerIterB=1 */


/* iter 10 */

s_waitcnt vmcnt(37)                                // lgkmcnt=-1 vmcnt=37global read wait for DirectToVgpr

/*  grEndMfmaIndex:4, lwStartMfmaIndex:14, lwEndMfmaIndex:14  */
/*  numMfmaForLR:0, barrierMfmaIndex:15, LocalWritePerMfma:16.000 */
/*  mfmaIndex:10  */
/* localReadsVacancy: latencyLeft 5 */
s_waitcnt lgkmcnt(5)                               // lgkmcnt=0 vmcnt=-1wait for prior local read local write old=1, new=1 newLW=0 newLR=0
v_mfma_f64_16x16x4_f64 v[0+0:7+0], v[vgprG2LB+20+0:vgprG2LB+20+0+1], v[vgprValuA_X10_I0+0+0+0:vgprValuA_X10_I0+0+0+0+1], v[0:7]
/* numPrefetchIter=0 */
/* dataAtIterA=9 numReadsIterA=11 skipReadsIterA=1 readsPerIterA=1 */
/* dataAtIterB=9 numReadsIterB=11 skipReadsIterB=1 readsPerIterB=1 */


/* iter 11 */

s_waitcnt vmcnt(36)                                // lgkmcnt=-1 vmcnt=36global read wait for DirectToVgpr

/*  grEndMfmaIndex:4, lwStartMfmaIndex:14, lwEndMfmaIndex:14  */
/*  numMfmaForLR:0, barrierMfmaIndex:15, LocalWritePerMfma:16.000 */
/*  mfmaIndex:11  */
/* localReadsVacancy: latencyLeft 5 */
s_waitcnt lgkmcnt(4)                               // lgkmcnt=0 vmcnt=-1wait for prior local read local write old=1, new=1 newLW=0 newLR=0
v_mfma_f64_16x16x4_f64 v[0+0:7+0], v[vgprG2LB+22+0:vgprG2LB+22+0+1], v[vgprValuA_X11_I0+0+0+0:vgprValuA_X11_I0+0+0+0+1], v[0:7]
/* numPrefetchIter=0 */
/* dataAtIterA=10 numReadsIterA=12 skipReadsIterA=1 readsPerIterA=1 */
/* dataAtIterB=10 numReadsIterB=12 skipReadsIterB=1 readsPerIterB=1 */


/* iter 12 */

s_waitcnt vmcnt(35)                                // lgkmcnt=-1 vmcnt=35global read wait for DirectToVgpr

/*  grEndMfmaIndex:4, lwStartMfmaIndex:14, lwEndMfmaIndex:14  */
/*  numMfmaForLR:0, barrierMfmaIndex:15, LocalWritePerMfma:16.000 */
/*  mfmaIndex:12  */
/* localReadsVacancy: latencyLeft 5 */
s_waitcnt lgkmcnt(3)                               // lgkmcnt=0 vmcnt=-1wait for prior local read local write old=1, new=1 newLW=0 newLR=0
v_mfma_f64_16x16x4_f64 v[0+0:7+0], v[vgprG2LB+24+0:vgprG2LB+24+0+1], v[vgprValuA_X12_I0+0+0+0:vgprValuA_X12_I0+0+0+0+1], v[0:7]
/* numPrefetchIter=0 */
/* dataAtIterA=11 numReadsIterA=13 skipReadsIterA=1 readsPerIterA=1 */
/* dataAtIterB=11 numReadsIterB=13 skipReadsIterB=1 readsPerIterB=1 */


/* iter 13 */

s_waitcnt vmcnt(34)                                // lgkmcnt=-1 vmcnt=34global read wait for DirectToVgpr

/*  grEndMfmaIndex:4, lwStartMfmaIndex:14, lwEndMfmaIndex:14  */
/*  numMfmaForLR:0, barrierMfmaIndex:15, LocalWritePerMfma:16.000 */
/*  mfmaIndex:13  */
/* localReadsVacancy: latencyLeft 5 */
/* 1 LDS buffer: read-sync-write */
s_waitcnt lgkmcnt(0)                               // 
s_barrier                                          // 
s_waitcnt lgkmcnt(2)                               // lgkmcnt=0 vmcnt=-1wait for prior local read local write old=1, new=1 newLW=0 newLR=0
v_mfma_f64_16x16x4_f64 v[0+0:7+0], v[vgprG2LB+26+0:vgprG2LB+26+0+1], v[vgprValuA_X13_I0+0+0+0:vgprValuA_X13_I0+0+0+0+1], v[0:7]
/* numPrefetchIter=0 */
/* dataAtIterA=12 numReadsIterA=14 skipReadsIterA=1 readsPerIterA=1 */
/* dataAtIterB=12 numReadsIterB=14 skipReadsIterB=1 readsPerIterB=1 */


/* iter 14 (reset local read pointers iteration)  (swap and reset local write pointers iteration)  (swap local read pointers iteration)  */

s_waitcnt vmcnt(33)                                // lgkmcnt=-1 vmcnt=33global read wait for DirectToVgpr

/*  grEndMfmaIndex:4, lwStartMfmaIndex:14, lwEndMfmaIndex:14  */
/*  numMfmaForLR:0, barrierMfmaIndex:15, LocalWritePerMfma:16.000 */
/*  mfmaIndex:14  */
/* sched write - iter 14 writesPerItem=1 */
s_waitcnt vmcnt(0)                                 // lgkmcnt=-1 vmcnt=0wait for global read before writing to local
_ds_store_b64 v[vgprLocalWriteAddrA], v[vgprG2LA+0:vgprG2LA+0+1] offset:0 // lwoA_0_0_0_0 = (0*LSCA)*(MT0I+PAD) + (0*LSPA) = 0
/* sched write - iter 14 writesPerItem=1 */
s_waitcnt vmcnt(0)                                 // lgkmcnt=-1 vmcnt=0wait for global read before writing to local
_ds_store_b64 v[vgprLocalWriteAddrA], v[vgprG2LA+2:vgprG2LA+2+1] offset:520 // lwoA_0_0_1_0 = (0*LSCA)*(MT0I+PAD) + (1*LSPA) = 520
/* sched write - iter 14 writesPerItem=1 */
s_waitcnt vmcnt(0)                                 // lgkmcnt=-1 vmcnt=0wait for global read before writing to local
_ds_store_b64 v[vgprLocalWriteAddrA], v[vgprG2LA+4:vgprG2LA+4+1] offset:1040 // lwoA_0_0_2_0 = (0*LSCA)*(MT0I+PAD) + (2*LSPA) = 1040
/* sched write - iter 14 writesPerItem=1 */
s_waitcnt vmcnt(0)                                 // lgkmcnt=-1 vmcnt=0wait for global read before writing to local
_ds_store_b64 v[vgprLocalWriteAddrA], v[vgprG2LA+6:vgprG2LA+6+1] offset:1560 // lwoA_0_0_3_0 = (0*LSCA)*(MT0I+PAD) + (3*LSPA) = 1560
/* sched write - iter 14 writesPerItem=1 */
s_waitcnt vmcnt(0)                                 // lgkmcnt=-1 vmcnt=0wait for global read before writing to local
_ds_store_b64 v[vgprLocalWriteAddrA], v[vgprG2LA+8:vgprG2LA+8+1] offset:2080 // lwoA_0_0_4_0 = (0*LSCA)*(MT0I+PAD) + (4*LSPA) = 2080
/* sched write - iter 14 writesPerItem=1 */
s_waitcnt vmcnt(0)                                 // lgkmcnt=-1 vmcnt=0wait for global read before writing to local
_ds_store_b64 v[vgprLocalWriteAddrA], v[vgprG2LA+10:vgprG2LA+10+1] offset:2600 // lwoA_0_0_5_0 = (0*LSCA)*(MT0I+PAD) + (5*LSPA) = 2600
/* sched write - iter 14 writesPerItem=1 */
s_waitcnt vmcnt(0)                                 // lgkmcnt=-1 vmcnt=0wait for global read before writing to local
_ds_store_b64 v[vgprLocalWriteAddrA], v[vgprG2LA+12:vgprG2LA+12+1] offset:3120 // lwoA_0_0_6_0 = (0*LSCA)*(MT0I+PAD) + (6*LSPA) = 3120
/* sched write - iter 14 writesPerItem=1 */
s_waitcnt vmcnt(0)                                 // lgkmcnt=-1 vmcnt=0wait for global read before writing to local
_ds_store_b64 v[vgprLocalWriteAddrA], v[vgprG2LA+14:vgprG2LA+14+1] offset:3640 // lwoA_0_0_7_0 = (0*LSCA)*(MT0I+PAD) + (7*LSPA) = 3640
/* sched write - iter 14 writesPerItem=1 */
s_waitcnt vmcnt(0)                                 // lgkmcnt=-1 vmcnt=0wait for global read before writing to local
_ds_store_b64 v[vgprLocalWriteAddrA], v[vgprG2LA+16:vgprG2LA+16+1] offset:4160 // lwoA_0_0_8_0 = (0*LSCA)*(MT0I+PAD) + (8*LSPA) = 4160
/* sched write - iter 14 writesPerItem=1 */
s_waitcnt vmcnt(0)                                 // lgkmcnt=-1 vmcnt=0wait for global read before writing to local
_ds_store_b64 v[vgprLocalWriteAddrA], v[vgprG2LA+18:vgprG2LA+18+1] offset:4680 // lwoA_0_0_9_0 = (0*LSCA)*(MT0I+PAD) + (9*LSPA) = 4680
/* sched write - iter 14 writesPerItem=1 */
s_waitcnt vmcnt(0)                                 // lgkmcnt=-1 vmcnt=0wait for global read before writing to local
_ds_store_b64 v[vgprLocalWriteAddrA], v[vgprG2LA+20:vgprG2LA+20+1] offset:5200 // lwoA_0_0_10_0 = (0*LSCA)*(MT0I+PAD) + (10*LSPA) = 5200
/* sched write - iter 14 writesPerItem=1 */
s_waitcnt vmcnt(0)                                 // lgkmcnt=-1 vmcnt=0wait for global read before writing to local
_ds_store_b64 v[vgprLocalWriteAddrA], v[vgprG2LA+22:vgprG2LA+22+1] offset:5720 // lwoA_0_0_11_0 = (0*LSCA)*(MT0I+PAD) + (11*LSPA) = 5720
/* sched write - iter 14 writesPerItem=1 */
s_waitcnt vmcnt(0)                                 // lgkmcnt=-1 vmcnt=0wait for global read before writing to local
_ds_store_b64 v[vgprLocalWriteAddrA], v[vgprG2LA+24:vgprG2LA+24+1] offset:6240 // lwoA_0_0_12_0 = (0*LSCA)*(MT0I+PAD) + (12*LSPA) = 6240
/* sched write - iter 14 writesPerItem=1 */
s_waitcnt vmcnt(0)                                 // lgkmcnt=-1 vmcnt=0wait for global read before writing to local
_ds_store_b64 v[vgprLocalWriteAddrA], v[vgprG2LA+26:vgprG2LA+26+1] offset:6760 // lwoA_0_0_13_0 = (0*LSCA)*(MT0I+PAD) + (13*LSPA) = 6760
/* sched write - iter 14 writesPerItem=1 */
s_waitcnt vmcnt(0)                                 // lgkmcnt=-1 vmcnt=0wait for global read before writing to local
_ds_store_b64 v[vgprLocalWriteAddrA], v[vgprG2LA+28:vgprG2LA+28+1] offset:7280 // lwoA_0_0_14_0 = (0*LSCA)*(MT0I+PAD) + (14*LSPA) = 7280
/* sched write - iter 14 writesPerItem=1 */
s_waitcnt vmcnt(0)                                 // lgkmcnt=-1 vmcnt=0wait for global read before writing to local
_ds_store_b64 v[vgprLocalWriteAddrA], v[vgprG2LA+30:vgprG2LA+30+1] offset:7800 // lwoA_0_0_15_0 = (0*LSCA)*(MT0I+PAD) + (15*LSPA) = 7800

/* local write swap offsets a */

/* local write swap offsets b */

/* local read swap offsets a */

/* local read swap offsets b */

/* local read init pointers a */

/* localReadInitPointers */

/* local read init pointers b */
s_waitcnt lgkmcnt(15)                              // lgkmcnt=0 vmcnt=-1wait for prior local read local write old=1, new=17 newLW=16 newLR=0
v_mfma_f64_16x16x4_f64 v[0+0:7+0], v[vgprG2LB+28+0:vgprG2LB+28+0+1], v[vgprValuA_X14_I0+0+0+0:vgprValuA_X14_I0+0+0+0+1], v[0:7]
/* numPrefetchIter=0 */
/* dataAtIterA=13 numReadsIterA=15 skipReadsIterA=1 readsPerIterA=1 */
/* dataAtIterB=13 numReadsIterB=15 skipReadsIterB=1 readsPerIterB=1 */


/* iter 15 */

/*  grEndMfmaIndex:4, lwStartMfmaIndex:14, lwEndMfmaIndex:14  */
/*  numMfmaForLR:0, barrierMfmaIndex:15, LocalWritePerMfma:16.000 */
/*  mfmaIndex:15  */
s_waitcnt lgkmcnt(0)                               // lgkmcnt=0 vmcnt=-13wait for local write
// Skip barrier: NumThreads=64
_ds_load_b64 v[vgprValuA_X0_I0+0:vgprValuA_X0_I0+0+1], v[vgprLocalReadAddrA] offset:0 // L -> Reg lro=0 swapByteOffset=0 ti=16 vIdx=0 rIdx=0 oIdx=0 buffer=0 iui=0
v_mfma_f64_16x16x4_f64 v[0+0:7+0], v[vgprG2LB+30+0:vgprG2LB+30+0+1], v[vgprValuA_X15_I0+0+0+0:vgprValuA_X15_I0+0+0+0+1], v[0:7]

label_0018: // EvenEndNoGlobalLoadLoopOrd 

label_0014:


/******************************************/
/* Ord. NoLoadLoop - Begin                                      */
/******************************************/


s_and_b32 s10, s[sgprOrigLoopCounter], 1           // test if OrigLoopCounter is Odd ?
s_cbranch_scc0 label_0019                          // Skip odd code if OrigLoopCounter is Even


	;; [unrolled: 1-line block ×3, first 2 shown]
/* iter 0 (last unrolled loop) */

s_waitcnt vmcnt(15)                                // lgkmcnt=-1 vmcnt=15global read wait for DirectToVgpr

/*  grEndMfmaIndex:0, lwStartMfmaIndex:14, lwEndMfmaIndex:14  */
/*  numMfmaForLR:0, barrierMfmaIndex:15, LocalWritePerMfma:16.000 */
/*  mfmaIndex:0  */
_ds_load_b64 v[vgprValuA_X1_I0+0:vgprValuA_X1_I0+0+1], v[vgprLocalReadAddrA] offset:32 // L -> Reg lro=4 swapByteOffset=0 ti=16 vIdx=0 rIdx=0 oIdx=0 buffer=1 iui=0
/* localReadsVacancy: latencyLeft 3 */
_ds_load_b64 v[vgprValuA_X2_I0+0:vgprValuA_X2_I0+0+1], v[vgprLocalReadAddrA] offset:64 // L -> Reg lro=8 swapByteOffset=0 ti=16 vIdx=0 rIdx=0 oIdx=0 buffer=2 iui=0
s_waitcnt lgkmcnt(2)                               // lgkmcnt=0 vmcnt=-1wait for prior local read local write old=0, new=1 newLW=0 newLR=1
v_mfma_f64_16x16x4_f64 v[0+0:7+0], v[vgprG2LB+0+0:vgprG2LB+0+0+1], v[vgprValuA_X0_I0+0+0+0:vgprValuA_X0_I0+0+0+0+1], v[0:7]
/* numPrefetchIter=0 */
/* dataAtIterA=-1 numReadsIterA=1 skipReadsIterA=1 readsPerIterA=1 */
/* dataAtIterB=-1 numReadsIterB=1 skipReadsIterB=1 readsPerIterB=1 */


/* iter 1 (last unrolled loop) */

s_waitcnt vmcnt(14)                                // lgkmcnt=-1 vmcnt=14global read wait for DirectToVgpr

/*  grEndMfmaIndex:0, lwStartMfmaIndex:14, lwEndMfmaIndex:14  */
/*  numMfmaForLR:0, barrierMfmaIndex:15, LocalWritePerMfma:16.000 */
/*  mfmaIndex:1  */
/* localReadsVacancy: latencyLeft 5 */
_ds_load_b64 v[vgprValuA_X3_I0+0:vgprValuA_X3_I0+0+1], v[vgprLocalReadAddrA] offset:96 // L -> Reg lro=12 swapByteOffset=0 ti=16 vIdx=0 rIdx=0 oIdx=0 buffer=3 iui=0
_ds_load_b64 v[vgprValuA_X4_I0+0:vgprValuA_X4_I0+0+1], v[vgprLocalReadAddrA] offset:128 // L -> Reg lro=16 swapByteOffset=0 ti=16 vIdx=0 rIdx=0 oIdx=0 buffer=4 iui=0
s_waitcnt lgkmcnt(3)                               // lgkmcnt=0 vmcnt=-1wait for prior local read local write old=1, new=1 newLW=0 newLR=0
v_mfma_f64_16x16x4_f64 v[0+0:7+0], v[vgprG2LB+2+0:vgprG2LB+2+0+1], v[vgprValuA_X1_I0+0+0+0:vgprValuA_X1_I0+0+0+0+1], v[0:7]
/* numPrefetchIter=0 */
/* dataAtIterA=0 numReadsIterA=2 skipReadsIterA=1 readsPerIterA=1 */
/* dataAtIterB=0 numReadsIterB=2 skipReadsIterB=1 readsPerIterB=1 */


/* iter 2 (last unrolled loop) */

s_waitcnt vmcnt(13)                                // lgkmcnt=-1 vmcnt=13global read wait for DirectToVgpr

/*  grEndMfmaIndex:0, lwStartMfmaIndex:14, lwEndMfmaIndex:14  */
/*  numMfmaForLR:0, barrierMfmaIndex:15, LocalWritePerMfma:16.000 */
/*  mfmaIndex:2  */
/* localReadsVacancy: latencyLeft 5 */
_ds_load_b64 v[vgprValuA_X5_I0+0:vgprValuA_X5_I0+0+1], v[vgprLocalReadAddrA] offset:160 // L -> Reg lro=20 swapByteOffset=0 ti=16 vIdx=0 rIdx=0 oIdx=0 buffer=5 iui=0
_ds_load_b64 v[vgprValuA_X6_I0+0:vgprValuA_X6_I0+0+1], v[vgprLocalReadAddrA] offset:192 // L -> Reg lro=24 swapByteOffset=0 ti=16 vIdx=0 rIdx=0 oIdx=0 buffer=6 iui=0
s_waitcnt lgkmcnt(4)                               // lgkmcnt=0 vmcnt=-1wait for prior local read local write old=1, new=1 newLW=0 newLR=0
v_mfma_f64_16x16x4_f64 v[0+0:7+0], v[vgprG2LB+4+0:vgprG2LB+4+0+1], v[vgprValuA_X2_I0+0+0+0:vgprValuA_X2_I0+0+0+0+1], v[0:7]
/* numPrefetchIter=0 */
/* dataAtIterA=1 numReadsIterA=3 skipReadsIterA=1 readsPerIterA=1 */
/* dataAtIterB=1 numReadsIterB=3 skipReadsIterB=1 readsPerIterB=1 */


/* iter 3 (last unrolled loop) */

s_waitcnt vmcnt(12)                                // lgkmcnt=-1 vmcnt=12global read wait for DirectToVgpr

/*  grEndMfmaIndex:0, lwStartMfmaIndex:14, lwEndMfmaIndex:14  */
/*  numMfmaForLR:0, barrierMfmaIndex:15, LocalWritePerMfma:16.000 */
/*  mfmaIndex:3  */
/* localReadsVacancy: latencyLeft 5 */
_ds_load_b64 v[vgprValuA_X7_I0+0:vgprValuA_X7_I0+0+1], v[vgprLocalReadAddrA] offset:224 // L -> Reg lro=28 swapByteOffset=0 ti=16 vIdx=0 rIdx=0 oIdx=0 buffer=7 iui=0
_ds_load_b64 v[vgprValuA_X8_I0+0:vgprValuA_X8_I0+0+1], v[vgprLocalReadAddrA] offset:256 // L -> Reg lro=32 swapByteOffset=0 ti=16 vIdx=0 rIdx=0 oIdx=0 buffer=8 iui=0
s_waitcnt lgkmcnt(5)                               // lgkmcnt=0 vmcnt=-1wait for prior local read local write old=1, new=1 newLW=0 newLR=0
v_mfma_f64_16x16x4_f64 v[0+0:7+0], v[vgprG2LB+6+0:vgprG2LB+6+0+1], v[vgprValuA_X3_I0+0+0+0:vgprValuA_X3_I0+0+0+0+1], v[0:7]
/* numPrefetchIter=0 */
/* dataAtIterA=2 numReadsIterA=4 skipReadsIterA=1 readsPerIterA=1 */
/* dataAtIterB=2 numReadsIterB=4 skipReadsIterB=1 readsPerIterB=1 */


/* iter 4 (last unrolled loop) */

s_waitcnt vmcnt(11)                                // lgkmcnt=-1 vmcnt=11global read wait for DirectToVgpr

/*  grEndMfmaIndex:0, lwStartMfmaIndex:14, lwEndMfmaIndex:14  */
/*  numMfmaForLR:0, barrierMfmaIndex:15, LocalWritePerMfma:16.000 */
/*  mfmaIndex:4  */
/* localReadsVacancy: latencyLeft 5 */
_ds_load_b64 v[vgprValuA_X9_I0+0:vgprValuA_X9_I0+0+1], v[vgprLocalReadAddrA] offset:288 // L -> Reg lro=36 swapByteOffset=0 ti=16 vIdx=0 rIdx=0 oIdx=0 buffer=9 iui=0
_ds_load_b64 v[vgprValuA_X10_I0+0:vgprValuA_X10_I0+0+1], v[vgprLocalReadAddrA] offset:320 // L -> Reg lro=40 swapByteOffset=0 ti=16 vIdx=0 rIdx=0 oIdx=0 buffer=10 iui=0
s_waitcnt lgkmcnt(6)                               // lgkmcnt=0 vmcnt=-1wait for prior local read local write old=1, new=1 newLW=0 newLR=0
v_mfma_f64_16x16x4_f64 v[0+0:7+0], v[vgprG2LB+8+0:vgprG2LB+8+0+1], v[vgprValuA_X4_I0+0+0+0:vgprValuA_X4_I0+0+0+0+1], v[0:7]
/* numPrefetchIter=0 */
/* dataAtIterA=3 numReadsIterA=5 skipReadsIterA=1 readsPerIterA=1 */
/* dataAtIterB=3 numReadsIterB=5 skipReadsIterB=1 readsPerIterB=1 */


/* iter 5 (last unrolled loop) */

s_waitcnt vmcnt(10)                                // lgkmcnt=-1 vmcnt=10global read wait for DirectToVgpr

/*  grEndMfmaIndex:0, lwStartMfmaIndex:14, lwEndMfmaIndex:14  */
/*  numMfmaForLR:0, barrierMfmaIndex:15, LocalWritePerMfma:16.000 */
/*  mfmaIndex:5  */
/* localReadsVacancy: latencyLeft 5 */
_ds_load_b64 v[vgprValuA_X11_I0+0:vgprValuA_X11_I0+0+1], v[vgprLocalReadAddrA] offset:352 // L -> Reg lro=44 swapByteOffset=0 ti=16 vIdx=0 rIdx=0 oIdx=0 buffer=11 iui=0
_ds_load_b64 v[vgprValuA_X12_I0+0:vgprValuA_X12_I0+0+1], v[vgprLocalReadAddrA] offset:384 // L -> Reg lro=48 swapByteOffset=0 ti=16 vIdx=0 rIdx=0 oIdx=0 buffer=12 iui=0
s_waitcnt lgkmcnt(7)                               // lgkmcnt=0 vmcnt=-1wait for prior local read local write old=1, new=1 newLW=0 newLR=0
v_mfma_f64_16x16x4_f64 v[0+0:7+0], v[vgprG2LB+10+0:vgprG2LB+10+0+1], v[vgprValuA_X5_I0+0+0+0:vgprValuA_X5_I0+0+0+0+1], v[0:7]
/* numPrefetchIter=0 */
/* dataAtIterA=4 numReadsIterA=6 skipReadsIterA=1 readsPerIterA=1 */
/* dataAtIterB=4 numReadsIterB=6 skipReadsIterB=1 readsPerIterB=1 */


/* iter 6 (last unrolled loop) */

s_waitcnt vmcnt(9)                                 // lgkmcnt=-1 vmcnt=9global read wait for DirectToVgpr

/*  grEndMfmaIndex:0, lwStartMfmaIndex:14, lwEndMfmaIndex:14  */
/*  numMfmaForLR:0, barrierMfmaIndex:15, LocalWritePerMfma:16.000 */
/*  mfmaIndex:6  */
/* localReadsVacancy: latencyLeft 5 */
_ds_load_b64 v[vgprValuA_X13_I0+0:vgprValuA_X13_I0+0+1], v[vgprLocalReadAddrA] offset:416 // L -> Reg lro=52 swapByteOffset=0 ti=16 vIdx=0 rIdx=0 oIdx=0 buffer=13 iui=0
_ds_load_b64 v[vgprValuA_X14_I0+0:vgprValuA_X14_I0+0+1], v[vgprLocalReadAddrA] offset:448 // L -> Reg lro=56 swapByteOffset=0 ti=16 vIdx=0 rIdx=0 oIdx=0 buffer=14 iui=0
s_waitcnt lgkmcnt(8)                               // lgkmcnt=0 vmcnt=-1wait for prior local read local write old=1, new=1 newLW=0 newLR=0
v_mfma_f64_16x16x4_f64 v[0+0:7+0], v[vgprG2LB+12+0:vgprG2LB+12+0+1], v[vgprValuA_X6_I0+0+0+0:vgprValuA_X6_I0+0+0+0+1], v[0:7]
/* numPrefetchIter=0 */
/* dataAtIterA=5 numReadsIterA=7 skipReadsIterA=1 readsPerIterA=1 */
/* dataAtIterB=5 numReadsIterB=7 skipReadsIterB=1 readsPerIterB=1 */


/* iter 7 (last unrolled loop) */

s_waitcnt vmcnt(8)                                 // lgkmcnt=-1 vmcnt=8global read wait for DirectToVgpr

/*  grEndMfmaIndex:0, lwStartMfmaIndex:14, lwEndMfmaIndex:14  */
/*  numMfmaForLR:0, barrierMfmaIndex:15, LocalWritePerMfma:16.000 */
/*  mfmaIndex:7  */
/* localReadsVacancy: latencyLeft 5 */
_ds_load_b64 v[vgprValuA_X15_I0+0:vgprValuA_X15_I0+0+1], v[vgprLocalReadAddrA] offset:480 // L -> Reg lro=60 swapByteOffset=0 ti=16 vIdx=0 rIdx=0 oIdx=0 buffer=15 iui=0
s_waitcnt lgkmcnt(8)                               // lgkmcnt=0 vmcnt=-1wait for prior local read local write old=1, new=1 newLW=0 newLR=0
v_mfma_f64_16x16x4_f64 v[0+0:7+0], v[vgprG2LB+14+0:vgprG2LB+14+0+1], v[vgprValuA_X7_I0+0+0+0:vgprValuA_X7_I0+0+0+0+1], v[0:7]
/* numPrefetchIter=0 */
/* dataAtIterA=6 numReadsIterA=8 skipReadsIterA=1 readsPerIterA=1 */
/* dataAtIterB=6 numReadsIterB=8 skipReadsIterB=1 readsPerIterB=1 */


/* iter 8 (last unrolled loop) */

s_waitcnt vmcnt(7)                                 // lgkmcnt=-1 vmcnt=7global read wait for DirectToVgpr

/*  grEndMfmaIndex:0, lwStartMfmaIndex:14, lwEndMfmaIndex:14  */
/*  numMfmaForLR:0, barrierMfmaIndex:15, LocalWritePerMfma:16.000 */
/*  mfmaIndex:8  */
/* localReadsVacancy: latencyLeft 5 */
s_waitcnt lgkmcnt(7)                               // lgkmcnt=0 vmcnt=-1wait for prior local read local write old=1, new=1 newLW=0 newLR=0
v_mfma_f64_16x16x4_f64 v[0+0:7+0], v[vgprG2LB+16+0:vgprG2LB+16+0+1], v[vgprValuA_X8_I0+0+0+0:vgprValuA_X8_I0+0+0+0+1], v[0:7]
/* numPrefetchIter=0 */
/* dataAtIterA=7 numReadsIterA=9 skipReadsIterA=1 readsPerIterA=1 */
/* dataAtIterB=7 numReadsIterB=9 skipReadsIterB=1 readsPerIterB=1 */


/* iter 9 (last unrolled loop) */

s_waitcnt vmcnt(6)                                 // lgkmcnt=-1 vmcnt=6global read wait for DirectToVgpr

/*  grEndMfmaIndex:0, lwStartMfmaIndex:14, lwEndMfmaIndex:14  */
/*  numMfmaForLR:0, barrierMfmaIndex:15, LocalWritePerMfma:16.000 */
/*  mfmaIndex:9  */
/* localReadsVacancy: latencyLeft 5 */
s_waitcnt lgkmcnt(6)                               // lgkmcnt=0 vmcnt=-1wait for prior local read local write old=1, new=1 newLW=0 newLR=0
v_mfma_f64_16x16x4_f64 v[0+0:7+0], v[vgprG2LB+18+0:vgprG2LB+18+0+1], v[vgprValuA_X9_I0+0+0+0:vgprValuA_X9_I0+0+0+0+1], v[0:7]
/* numPrefetchIter=0 */
/* dataAtIterA=8 numReadsIterA=10 skipReadsIterA=1 readsPerIterA=1 */
/* dataAtIterB=8 numReadsIterB=10 skipReadsIterB=1 readsPerIterB=1 */


/* iter 10 (last unrolled loop) */

s_waitcnt vmcnt(5)                                 // lgkmcnt=-1 vmcnt=5global read wait for DirectToVgpr

/*  grEndMfmaIndex:0, lwStartMfmaIndex:14, lwEndMfmaIndex:14  */
/*  numMfmaForLR:0, barrierMfmaIndex:15, LocalWritePerMfma:16.000 */
/*  mfmaIndex:10  */
/* localReadsVacancy: latencyLeft 5 */
s_waitcnt lgkmcnt(5)                               // lgkmcnt=0 vmcnt=-1wait for prior local read local write old=1, new=1 newLW=0 newLR=0
v_mfma_f64_16x16x4_f64 v[0+0:7+0], v[vgprG2LB+20+0:vgprG2LB+20+0+1], v[vgprValuA_X10_I0+0+0+0:vgprValuA_X10_I0+0+0+0+1], v[0:7]
/* numPrefetchIter=0 */
/* dataAtIterA=9 numReadsIterA=11 skipReadsIterA=1 readsPerIterA=1 */
/* dataAtIterB=9 numReadsIterB=11 skipReadsIterB=1 readsPerIterB=1 */


/* iter 11 (last unrolled loop) */

s_waitcnt vmcnt(4)                                 // lgkmcnt=-1 vmcnt=4global read wait for DirectToVgpr

/*  grEndMfmaIndex:0, lwStartMfmaIndex:14, lwEndMfmaIndex:14  */
/*  numMfmaForLR:0, barrierMfmaIndex:15, LocalWritePerMfma:16.000 */
/*  mfmaIndex:11  */
/* localReadsVacancy: latencyLeft 5 */
s_waitcnt lgkmcnt(4)                               // lgkmcnt=0 vmcnt=-1wait for prior local read local write old=1, new=1 newLW=0 newLR=0
v_mfma_f64_16x16x4_f64 v[0+0:7+0], v[vgprG2LB+22+0:vgprG2LB+22+0+1], v[vgprValuA_X11_I0+0+0+0:vgprValuA_X11_I0+0+0+0+1], v[0:7]
/* numPrefetchIter=0 */
/* dataAtIterA=10 numReadsIterA=12 skipReadsIterA=1 readsPerIterA=1 */
/* dataAtIterB=10 numReadsIterB=12 skipReadsIterB=1 readsPerIterB=1 */


/* iter 12 (last unrolled loop) */

s_waitcnt vmcnt(3)                                 // lgkmcnt=-1 vmcnt=3global read wait for DirectToVgpr

/*  grEndMfmaIndex:0, lwStartMfmaIndex:14, lwEndMfmaIndex:14  */
/*  numMfmaForLR:0, barrierMfmaIndex:15, LocalWritePerMfma:16.000 */
/*  mfmaIndex:12  */
/* localReadsVacancy: latencyLeft 5 */
s_waitcnt lgkmcnt(3)                               // lgkmcnt=0 vmcnt=-1wait for prior local read local write old=1, new=1 newLW=0 newLR=0
v_mfma_f64_16x16x4_f64 v[0+0:7+0], v[vgprG2LB+24+0:vgprG2LB+24+0+1], v[vgprValuA_X12_I0+0+0+0:vgprValuA_X12_I0+0+0+0+1], v[0:7]
/* numPrefetchIter=0 */
/* dataAtIterA=11 numReadsIterA=13 skipReadsIterA=1 readsPerIterA=1 */
/* dataAtIterB=11 numReadsIterB=13 skipReadsIterB=1 readsPerIterB=1 */


/* iter 13 (last unrolled loop) */

s_waitcnt vmcnt(2)                                 // lgkmcnt=-1 vmcnt=2global read wait for DirectToVgpr

/*  grEndMfmaIndex:0, lwStartMfmaIndex:14, lwEndMfmaIndex:14  */
/*  numMfmaForLR:0, barrierMfmaIndex:15, LocalWritePerMfma:16.000 */
/*  mfmaIndex:13  */
/* localReadsVacancy: latencyLeft 5 */
/* 1 LDS buffer: read-sync-write */
s_waitcnt lgkmcnt(0)                               // 
s_barrier                                          // 
s_waitcnt lgkmcnt(2)                               // lgkmcnt=0 vmcnt=-1wait for prior local read local write old=1, new=1 newLW=0 newLR=0
v_mfma_f64_16x16x4_f64 v[0+0:7+0], v[vgprG2LB+26+0:vgprG2LB+26+0+1], v[vgprValuA_X13_I0+0+0+0:vgprValuA_X13_I0+0+0+0+1], v[0:7]
/* numPrefetchIter=0 */
/* dataAtIterA=12 numReadsIterA=14 skipReadsIterA=1 readsPerIterA=1 */
/* dataAtIterB=12 numReadsIterB=14 skipReadsIterB=1 readsPerIterB=1 */


/* iter 14 (last unrolled loop) */

s_waitcnt vmcnt(1)                                 // lgkmcnt=-1 vmcnt=1global read wait for DirectToVgpr

/*  grEndMfmaIndex:0, lwStartMfmaIndex:14, lwEndMfmaIndex:14  */
/*  numMfmaForLR:0, barrierMfmaIndex:15, LocalWritePerMfma:16.000 */
/*  mfmaIndex:14  */
/* localReadsVacancy: latencyLeft 5 */
s_waitcnt lgkmcnt(1)                               // lgkmcnt=0 vmcnt=-1wait for prior local read local write old=1, new=1 newLW=0 newLR=0
v_mfma_f64_16x16x4_f64 v[0+0:7+0], v[vgprG2LB+28+0:vgprG2LB+28+0+1], v[vgprValuA_X14_I0+0+0+0:vgprValuA_X14_I0+0+0+0+1], v[0:7]
/* numPrefetchIter=0 */
/* dataAtIterA=13 numReadsIterA=15 skipReadsIterA=1 readsPerIterA=1 */
/* dataAtIterB=13 numReadsIterB=15 skipReadsIterB=1 readsPerIterB=1 */


/* iter 15 (last unrolled loop) */

s_waitcnt vmcnt(0)                                 // lgkmcnt=-1 vmcnt=0global read wait for DirectToVgpr

/*  grEndMfmaIndex:0, lwStartMfmaIndex:14, lwEndMfmaIndex:14  */
/*  numMfmaForLR:0, barrierMfmaIndex:15, LocalWritePerMfma:16.000 */
/*  mfmaIndex:15  */
v_mfma_f64_16x16x4_f64 v[0+0:7+0], v[vgprG2LB+30+0:vgprG2LB+30+0+1], v[vgprValuA_X15_I0+0+0+0:vgprValuA_X15_I0+0+0+0+1], v[0:7]

s_branch label_0020                                // Skip even code
label_0019: // EvenStartNoLoadLoopOrd 


	;; [unrolled: 1-line block ×3, first 2 shown]
/* iter 0 (last unrolled loop) */

s_waitcnt vmcnt(15)                                // lgkmcnt=-1 vmcnt=15global read wait for DirectToVgpr

/*  grEndMfmaIndex:0, lwStartMfmaIndex:14, lwEndMfmaIndex:14  */
/*  numMfmaForLR:0, barrierMfmaIndex:15, LocalWritePerMfma:16.000 */
/*  mfmaIndex:0  */
_ds_load_b64 v[vgprValuA_X1_I0+0:vgprValuA_X1_I0+0+1], v[vgprLocalReadAddrA] offset:32 // L -> Reg lro=4 swapByteOffset=0 ti=16 vIdx=0 rIdx=0 oIdx=0 buffer=1 iui=0
/* localReadsVacancy: latencyLeft 3 */
_ds_load_b64 v[vgprValuA_X2_I0+0:vgprValuA_X2_I0+0+1], v[vgprLocalReadAddrA] offset:64 // L -> Reg lro=8 swapByteOffset=0 ti=16 vIdx=0 rIdx=0 oIdx=0 buffer=2 iui=0
s_waitcnt lgkmcnt(2)                               // lgkmcnt=0 vmcnt=-1wait for prior local read local write old=0, new=1 newLW=0 newLR=1
v_mfma_f64_16x16x4_f64 v[0+0:7+0], v[vgprG2LB+32+0:vgprG2LB+32+0+1], v[vgprValuA_X0_I0+0+0+0:vgprValuA_X0_I0+0+0+0+1], v[0:7]
/* numPrefetchIter=0 */
/* dataAtIterA=-1 numReadsIterA=1 skipReadsIterA=1 readsPerIterA=1 */
/* dataAtIterB=-1 numReadsIterB=1 skipReadsIterB=1 readsPerIterB=1 */


/* iter 1 (last unrolled loop) */

s_waitcnt vmcnt(14)                                // lgkmcnt=-1 vmcnt=14global read wait for DirectToVgpr

/*  grEndMfmaIndex:0, lwStartMfmaIndex:14, lwEndMfmaIndex:14  */
/*  numMfmaForLR:0, barrierMfmaIndex:15, LocalWritePerMfma:16.000 */
/*  mfmaIndex:1  */
/* localReadsVacancy: latencyLeft 5 */
_ds_load_b64 v[vgprValuA_X3_I0+0:vgprValuA_X3_I0+0+1], v[vgprLocalReadAddrA] offset:96 // L -> Reg lro=12 swapByteOffset=0 ti=16 vIdx=0 rIdx=0 oIdx=0 buffer=3 iui=0
_ds_load_b64 v[vgprValuA_X4_I0+0:vgprValuA_X4_I0+0+1], v[vgprLocalReadAddrA] offset:128 // L -> Reg lro=16 swapByteOffset=0 ti=16 vIdx=0 rIdx=0 oIdx=0 buffer=4 iui=0
s_waitcnt lgkmcnt(3)                               // lgkmcnt=0 vmcnt=-1wait for prior local read local write old=1, new=1 newLW=0 newLR=0
v_mfma_f64_16x16x4_f64 v[0+0:7+0], v[vgprG2LB+34+0:vgprG2LB+34+0+1], v[vgprValuA_X1_I0+0+0+0:vgprValuA_X1_I0+0+0+0+1], v[0:7]
/* numPrefetchIter=0 */
/* dataAtIterA=0 numReadsIterA=2 skipReadsIterA=1 readsPerIterA=1 */
/* dataAtIterB=0 numReadsIterB=2 skipReadsIterB=1 readsPerIterB=1 */


/* iter 2 (last unrolled loop) */

s_waitcnt vmcnt(13)                                // lgkmcnt=-1 vmcnt=13global read wait for DirectToVgpr

/*  grEndMfmaIndex:0, lwStartMfmaIndex:14, lwEndMfmaIndex:14  */
/*  numMfmaForLR:0, barrierMfmaIndex:15, LocalWritePerMfma:16.000 */
/*  mfmaIndex:2  */
/* localReadsVacancy: latencyLeft 5 */
_ds_load_b64 v[vgprValuA_X5_I0+0:vgprValuA_X5_I0+0+1], v[vgprLocalReadAddrA] offset:160 // L -> Reg lro=20 swapByteOffset=0 ti=16 vIdx=0 rIdx=0 oIdx=0 buffer=5 iui=0
_ds_load_b64 v[vgprValuA_X6_I0+0:vgprValuA_X6_I0+0+1], v[vgprLocalReadAddrA] offset:192 // L -> Reg lro=24 swapByteOffset=0 ti=16 vIdx=0 rIdx=0 oIdx=0 buffer=6 iui=0
s_waitcnt lgkmcnt(4)                               // lgkmcnt=0 vmcnt=-1wait for prior local read local write old=1, new=1 newLW=0 newLR=0
v_mfma_f64_16x16x4_f64 v[0+0:7+0], v[vgprG2LB+36+0:vgprG2LB+36+0+1], v[vgprValuA_X2_I0+0+0+0:vgprValuA_X2_I0+0+0+0+1], v[0:7]
/* numPrefetchIter=0 */
/* dataAtIterA=1 numReadsIterA=3 skipReadsIterA=1 readsPerIterA=1 */
/* dataAtIterB=1 numReadsIterB=3 skipReadsIterB=1 readsPerIterB=1 */


/* iter 3 (last unrolled loop) */

s_waitcnt vmcnt(12)                                // lgkmcnt=-1 vmcnt=12global read wait for DirectToVgpr

/*  grEndMfmaIndex:0, lwStartMfmaIndex:14, lwEndMfmaIndex:14  */
/*  numMfmaForLR:0, barrierMfmaIndex:15, LocalWritePerMfma:16.000 */
/*  mfmaIndex:3  */
/* localReadsVacancy: latencyLeft 5 */
_ds_load_b64 v[vgprValuA_X7_I0+0:vgprValuA_X7_I0+0+1], v[vgprLocalReadAddrA] offset:224 // L -> Reg lro=28 swapByteOffset=0 ti=16 vIdx=0 rIdx=0 oIdx=0 buffer=7 iui=0
_ds_load_b64 v[vgprValuA_X8_I0+0:vgprValuA_X8_I0+0+1], v[vgprLocalReadAddrA] offset:256 // L -> Reg lro=32 swapByteOffset=0 ti=16 vIdx=0 rIdx=0 oIdx=0 buffer=8 iui=0
s_waitcnt lgkmcnt(5)                               // lgkmcnt=0 vmcnt=-1wait for prior local read local write old=1, new=1 newLW=0 newLR=0
v_mfma_f64_16x16x4_f64 v[0+0:7+0], v[vgprG2LB+38+0:vgprG2LB+38+0+1], v[vgprValuA_X3_I0+0+0+0:vgprValuA_X3_I0+0+0+0+1], v[0:7]
/* numPrefetchIter=0 */
/* dataAtIterA=2 numReadsIterA=4 skipReadsIterA=1 readsPerIterA=1 */
/* dataAtIterB=2 numReadsIterB=4 skipReadsIterB=1 readsPerIterB=1 */


/* iter 4 (last unrolled loop) */

s_waitcnt vmcnt(11)                                // lgkmcnt=-1 vmcnt=11global read wait for DirectToVgpr

/*  grEndMfmaIndex:0, lwStartMfmaIndex:14, lwEndMfmaIndex:14  */
/*  numMfmaForLR:0, barrierMfmaIndex:15, LocalWritePerMfma:16.000 */
/*  mfmaIndex:4  */
/* localReadsVacancy: latencyLeft 5 */
_ds_load_b64 v[vgprValuA_X9_I0+0:vgprValuA_X9_I0+0+1], v[vgprLocalReadAddrA] offset:288 // L -> Reg lro=36 swapByteOffset=0 ti=16 vIdx=0 rIdx=0 oIdx=0 buffer=9 iui=0
_ds_load_b64 v[vgprValuA_X10_I0+0:vgprValuA_X10_I0+0+1], v[vgprLocalReadAddrA] offset:320 // L -> Reg lro=40 swapByteOffset=0 ti=16 vIdx=0 rIdx=0 oIdx=0 buffer=10 iui=0
s_waitcnt lgkmcnt(6)                               // lgkmcnt=0 vmcnt=-1wait for prior local read local write old=1, new=1 newLW=0 newLR=0
v_mfma_f64_16x16x4_f64 v[0+0:7+0], v[vgprG2LB+40+0:vgprG2LB+40+0+1], v[vgprValuA_X4_I0+0+0+0:vgprValuA_X4_I0+0+0+0+1], v[0:7]
/* numPrefetchIter=0 */
/* dataAtIterA=3 numReadsIterA=5 skipReadsIterA=1 readsPerIterA=1 */
/* dataAtIterB=3 numReadsIterB=5 skipReadsIterB=1 readsPerIterB=1 */


/* iter 5 (last unrolled loop) */

s_waitcnt vmcnt(10)                                // lgkmcnt=-1 vmcnt=10global read wait for DirectToVgpr

/*  grEndMfmaIndex:0, lwStartMfmaIndex:14, lwEndMfmaIndex:14  */
/*  numMfmaForLR:0, barrierMfmaIndex:15, LocalWritePerMfma:16.000 */
/*  mfmaIndex:5  */
/* localReadsVacancy: latencyLeft 5 */
_ds_load_b64 v[vgprValuA_X11_I0+0:vgprValuA_X11_I0+0+1], v[vgprLocalReadAddrA] offset:352 // L -> Reg lro=44 swapByteOffset=0 ti=16 vIdx=0 rIdx=0 oIdx=0 buffer=11 iui=0
_ds_load_b64 v[vgprValuA_X12_I0+0:vgprValuA_X12_I0+0+1], v[vgprLocalReadAddrA] offset:384 // L -> Reg lro=48 swapByteOffset=0 ti=16 vIdx=0 rIdx=0 oIdx=0 buffer=12 iui=0
s_waitcnt lgkmcnt(7)                               // lgkmcnt=0 vmcnt=-1wait for prior local read local write old=1, new=1 newLW=0 newLR=0
v_mfma_f64_16x16x4_f64 v[0+0:7+0], v[vgprG2LB+42+0:vgprG2LB+42+0+1], v[vgprValuA_X5_I0+0+0+0:vgprValuA_X5_I0+0+0+0+1], v[0:7]
/* numPrefetchIter=0 */
/* dataAtIterA=4 numReadsIterA=6 skipReadsIterA=1 readsPerIterA=1 */
/* dataAtIterB=4 numReadsIterB=6 skipReadsIterB=1 readsPerIterB=1 */


/* iter 6 (last unrolled loop) */

s_waitcnt vmcnt(9)                                 // lgkmcnt=-1 vmcnt=9global read wait for DirectToVgpr

/*  grEndMfmaIndex:0, lwStartMfmaIndex:14, lwEndMfmaIndex:14  */
/*  numMfmaForLR:0, barrierMfmaIndex:15, LocalWritePerMfma:16.000 */
/*  mfmaIndex:6  */
/* localReadsVacancy: latencyLeft 5 */
_ds_load_b64 v[vgprValuA_X13_I0+0:vgprValuA_X13_I0+0+1], v[vgprLocalReadAddrA] offset:416 // L -> Reg lro=52 swapByteOffset=0 ti=16 vIdx=0 rIdx=0 oIdx=0 buffer=13 iui=0
_ds_load_b64 v[vgprValuA_X14_I0+0:vgprValuA_X14_I0+0+1], v[vgprLocalReadAddrA] offset:448 // L -> Reg lro=56 swapByteOffset=0 ti=16 vIdx=0 rIdx=0 oIdx=0 buffer=14 iui=0
s_waitcnt lgkmcnt(8)                               // lgkmcnt=0 vmcnt=-1wait for prior local read local write old=1, new=1 newLW=0 newLR=0
v_mfma_f64_16x16x4_f64 v[0+0:7+0], v[vgprG2LB+44+0:vgprG2LB+44+0+1], v[vgprValuA_X6_I0+0+0+0:vgprValuA_X6_I0+0+0+0+1], v[0:7]
/* numPrefetchIter=0 */
/* dataAtIterA=5 numReadsIterA=7 skipReadsIterA=1 readsPerIterA=1 */
/* dataAtIterB=5 numReadsIterB=7 skipReadsIterB=1 readsPerIterB=1 */


/* iter 7 (last unrolled loop) */

s_waitcnt vmcnt(8)                                 // lgkmcnt=-1 vmcnt=8global read wait for DirectToVgpr

/*  grEndMfmaIndex:0, lwStartMfmaIndex:14, lwEndMfmaIndex:14  */
/*  numMfmaForLR:0, barrierMfmaIndex:15, LocalWritePerMfma:16.000 */
/*  mfmaIndex:7  */
/* localReadsVacancy: latencyLeft 5 */
_ds_load_b64 v[vgprValuA_X15_I0+0:vgprValuA_X15_I0+0+1], v[vgprLocalReadAddrA] offset:480 // L -> Reg lro=60 swapByteOffset=0 ti=16 vIdx=0 rIdx=0 oIdx=0 buffer=15 iui=0
s_waitcnt lgkmcnt(8)                               // lgkmcnt=0 vmcnt=-1wait for prior local read local write old=1, new=1 newLW=0 newLR=0
v_mfma_f64_16x16x4_f64 v[0+0:7+0], v[vgprG2LB+46+0:vgprG2LB+46+0+1], v[vgprValuA_X7_I0+0+0+0:vgprValuA_X7_I0+0+0+0+1], v[0:7]
/* numPrefetchIter=0 */
/* dataAtIterA=6 numReadsIterA=8 skipReadsIterA=1 readsPerIterA=1 */
/* dataAtIterB=6 numReadsIterB=8 skipReadsIterB=1 readsPerIterB=1 */


/* iter 8 (last unrolled loop) */

s_waitcnt vmcnt(7)                                 // lgkmcnt=-1 vmcnt=7global read wait for DirectToVgpr

/*  grEndMfmaIndex:0, lwStartMfmaIndex:14, lwEndMfmaIndex:14  */
/*  numMfmaForLR:0, barrierMfmaIndex:15, LocalWritePerMfma:16.000 */
/*  mfmaIndex:8  */
/* localReadsVacancy: latencyLeft 5 */
s_waitcnt lgkmcnt(7)                               // lgkmcnt=0 vmcnt=-1wait for prior local read local write old=1, new=1 newLW=0 newLR=0
v_mfma_f64_16x16x4_f64 v[0+0:7+0], v[vgprG2LB+48+0:vgprG2LB+48+0+1], v[vgprValuA_X8_I0+0+0+0:vgprValuA_X8_I0+0+0+0+1], v[0:7]
/* numPrefetchIter=0 */
/* dataAtIterA=7 numReadsIterA=9 skipReadsIterA=1 readsPerIterA=1 */
/* dataAtIterB=7 numReadsIterB=9 skipReadsIterB=1 readsPerIterB=1 */


/* iter 9 (last unrolled loop) */

s_waitcnt vmcnt(6)                                 // lgkmcnt=-1 vmcnt=6global read wait for DirectToVgpr

/*  grEndMfmaIndex:0, lwStartMfmaIndex:14, lwEndMfmaIndex:14  */
/*  numMfmaForLR:0, barrierMfmaIndex:15, LocalWritePerMfma:16.000 */
/*  mfmaIndex:9  */
/* localReadsVacancy: latencyLeft 5 */
s_waitcnt lgkmcnt(6)                               // lgkmcnt=0 vmcnt=-1wait for prior local read local write old=1, new=1 newLW=0 newLR=0
v_mfma_f64_16x16x4_f64 v[0+0:7+0], v[vgprG2LB+50+0:vgprG2LB+50+0+1], v[vgprValuA_X9_I0+0+0+0:vgprValuA_X9_I0+0+0+0+1], v[0:7]
/* numPrefetchIter=0 */
/* dataAtIterA=8 numReadsIterA=10 skipReadsIterA=1 readsPerIterA=1 */
/* dataAtIterB=8 numReadsIterB=10 skipReadsIterB=1 readsPerIterB=1 */


/* iter 10 (last unrolled loop) */

s_waitcnt vmcnt(5)                                 // lgkmcnt=-1 vmcnt=5global read wait for DirectToVgpr

/*  grEndMfmaIndex:0, lwStartMfmaIndex:14, lwEndMfmaIndex:14  */
/*  numMfmaForLR:0, barrierMfmaIndex:15, LocalWritePerMfma:16.000 */
/*  mfmaIndex:10  */
/* localReadsVacancy: latencyLeft 5 */
s_waitcnt lgkmcnt(5)                               // lgkmcnt=0 vmcnt=-1wait for prior local read local write old=1, new=1 newLW=0 newLR=0
v_mfma_f64_16x16x4_f64 v[0+0:7+0], v[vgprG2LB+52+0:vgprG2LB+52+0+1], v[vgprValuA_X10_I0+0+0+0:vgprValuA_X10_I0+0+0+0+1], v[0:7]
/* numPrefetchIter=0 */
/* dataAtIterA=9 numReadsIterA=11 skipReadsIterA=1 readsPerIterA=1 */
/* dataAtIterB=9 numReadsIterB=11 skipReadsIterB=1 readsPerIterB=1 */


/* iter 11 (last unrolled loop) */

s_waitcnt vmcnt(4)                                 // lgkmcnt=-1 vmcnt=4global read wait for DirectToVgpr

/*  grEndMfmaIndex:0, lwStartMfmaIndex:14, lwEndMfmaIndex:14  */
/*  numMfmaForLR:0, barrierMfmaIndex:15, LocalWritePerMfma:16.000 */
/*  mfmaIndex:11  */
/* localReadsVacancy: latencyLeft 5 */
s_waitcnt lgkmcnt(4)                               // lgkmcnt=0 vmcnt=-1wait for prior local read local write old=1, new=1 newLW=0 newLR=0
v_mfma_f64_16x16x4_f64 v[0+0:7+0], v[vgprG2LB+54+0:vgprG2LB+54+0+1], v[vgprValuA_X11_I0+0+0+0:vgprValuA_X11_I0+0+0+0+1], v[0:7]
/* numPrefetchIter=0 */
/* dataAtIterA=10 numReadsIterA=12 skipReadsIterA=1 readsPerIterA=1 */
/* dataAtIterB=10 numReadsIterB=12 skipReadsIterB=1 readsPerIterB=1 */


/* iter 12 (last unrolled loop) */

s_waitcnt vmcnt(3)                                 // lgkmcnt=-1 vmcnt=3global read wait for DirectToVgpr

/*  grEndMfmaIndex:0, lwStartMfmaIndex:14, lwEndMfmaIndex:14  */
/*  numMfmaForLR:0, barrierMfmaIndex:15, LocalWritePerMfma:16.000 */
/*  mfmaIndex:12  */
/* localReadsVacancy: latencyLeft 5 */
s_waitcnt lgkmcnt(3)                               // lgkmcnt=0 vmcnt=-1wait for prior local read local write old=1, new=1 newLW=0 newLR=0
v_mfma_f64_16x16x4_f64 v[0+0:7+0], v[vgprG2LB+56+0:vgprG2LB+56+0+1], v[vgprValuA_X12_I0+0+0+0:vgprValuA_X12_I0+0+0+0+1], v[0:7]
/* numPrefetchIter=0 */
/* dataAtIterA=11 numReadsIterA=13 skipReadsIterA=1 readsPerIterA=1 */
/* dataAtIterB=11 numReadsIterB=13 skipReadsIterB=1 readsPerIterB=1 */


/* iter 13 (last unrolled loop) */

s_waitcnt vmcnt(2)                                 // lgkmcnt=-1 vmcnt=2global read wait for DirectToVgpr

/*  grEndMfmaIndex:0, lwStartMfmaIndex:14, lwEndMfmaIndex:14  */
/*  numMfmaForLR:0, barrierMfmaIndex:15, LocalWritePerMfma:16.000 */
/*  mfmaIndex:13  */
/* localReadsVacancy: latencyLeft 5 */
/* 1 LDS buffer: read-sync-write */
s_waitcnt lgkmcnt(0)                               // 
s_barrier                                          // 
s_waitcnt lgkmcnt(2)                               // lgkmcnt=0 vmcnt=-1wait for prior local read local write old=1, new=1 newLW=0 newLR=0
v_mfma_f64_16x16x4_f64 v[0+0:7+0], v[vgprG2LB+58+0:vgprG2LB+58+0+1], v[vgprValuA_X13_I0+0+0+0:vgprValuA_X13_I0+0+0+0+1], v[0:7]
/* numPrefetchIter=0 */
/* dataAtIterA=12 numReadsIterA=14 skipReadsIterA=1 readsPerIterA=1 */
/* dataAtIterB=12 numReadsIterB=14 skipReadsIterB=1 readsPerIterB=1 */


/* iter 14 (last unrolled loop) */

s_waitcnt vmcnt(1)                                 // lgkmcnt=-1 vmcnt=1global read wait for DirectToVgpr

/*  grEndMfmaIndex:0, lwStartMfmaIndex:14, lwEndMfmaIndex:14  */
/*  numMfmaForLR:0, barrierMfmaIndex:15, LocalWritePerMfma:16.000 */
/*  mfmaIndex:14  */
/* localReadsVacancy: latencyLeft 5 */
s_waitcnt lgkmcnt(1)                               // lgkmcnt=0 vmcnt=-1wait for prior local read local write old=1, new=1 newLW=0 newLR=0
v_mfma_f64_16x16x4_f64 v[0+0:7+0], v[vgprG2LB+60+0:vgprG2LB+60+0+1], v[vgprValuA_X14_I0+0+0+0:vgprValuA_X14_I0+0+0+0+1], v[0:7]
/* numPrefetchIter=0 */
/* dataAtIterA=13 numReadsIterA=15 skipReadsIterA=1 readsPerIterA=1 */
/* dataAtIterB=13 numReadsIterB=15 skipReadsIterB=1 readsPerIterB=1 */


/* iter 15 (last unrolled loop) */

s_waitcnt vmcnt(0)                                 // lgkmcnt=-1 vmcnt=0global read wait for DirectToVgpr

/*  grEndMfmaIndex:0, lwStartMfmaIndex:14, lwEndMfmaIndex:14  */
/*  numMfmaForLR:0, barrierMfmaIndex:15, LocalWritePerMfma:16.000 */
/*  mfmaIndex:15  */
v_mfma_f64_16x16x4_f64 v[0+0:7+0], v[vgprG2LB+62+0:vgprG2LB+62+0+1], v[vgprValuA_X15_I0+0+0+0:vgprValuA_X15_I0+0+0+0+1], v[0:7]

label_0020: // EvenEndNoLoadLoopOrd 

PrefetchGlobalLastIterEnd_5:


/******************************************/
/* Tail Loop                              */
/******************************************/


/* local write reset offsets a */


	;; [unrolled: 1-line block ×4, first 2 shown]
/* local write reset offsets b */


	;; [unrolled: 1-line block ×4, first 2 shown]
//numIterL = (((sizeL % LOCAL_DEPTHU) + LOCAL_SPLITU - 1) / LOCAL_SPLITU)
s_and_b32 s[sgprLoopCounterL], 63, s[sgprSizesSum+0] // s[sgprLoopCounterL] = s[sgprSizesSum+0] % 64
s_cmp_lg_u32 s[sgprGSUSumIdx], s[sgprGSUSumIdx+1]  // gsuSumIdx == numIterPerWgRemainder
s_cmov_b32 s[sgprLoopCounterL], 0x0                // numIter=0 if gsuSumIdx!=remainder
s_cmp_eq_u32 s[sgprLoopCounterL], 0x0              // numIterL == 0
s_cbranch_scc1 SkipTailLoopL_8                     // skip to end of tail loop b/c numIter==0
s_mov_b32 s[sgprOrigLoopCounter], 0                // repurpose to count each localRead increment


/* Update M0 for DTLDS */


	;; [unrolled: 1-line block ×3, first 2 shown]
/* global read a */

/* g2l=0, load component 0 */
_buffer_load_b64 v[vgprG2LA+0+0:vgprG2LA+0+0+1], v[vgprGlobalReadOffsetA+0], s[sgprSrdA:sgprSrdA+3], 0, offen offset:0 // load one buffer value
/* g2l=2, load component 0 */
_buffer_load_b64 v[vgprG2LA+2+0:vgprG2LA+2+0+1], v[vgprGlobalReadOffsetA+1], s[sgprSrdA:sgprSrdA+3], 0, offen offset:0 // load one buffer value
	;; [unrolled: 2-line block ×16, first 2 shown]


/* Update M0 for DTLDS */


	;; [unrolled: 1-line block ×3, first 2 shown]
/* global read b */

/* g2l=0, load component 0 */
_buffer_load_b64 v[vgprG2LB+0+0:vgprG2LB+0+0+1], v[vgprGlobalReadOffsetB+0], s[sgprSrdB:sgprSrdB+3], 0, offen offset:0 // load one buffer value
/* g2l=2, load component 0 */
_buffer_load_b64 v[vgprG2LB+2+0:vgprG2LB+2+0+1], v[vgprGlobalReadOffsetB+1], s[sgprSrdB:sgprSrdB+3], 0, offen offset:0 // load one buffer value
	;; [unrolled: 2-line block ×16, first 2 shown]

s_waitcnt vmcnt(0)                                 // lgkmcnt=-1 vmcnt=02wait for global read

// Skip barrier: NumThreads=64


/* Done global A/B reads */


	;; [unrolled: 1-line block ×4, first 2 shown]
/* local write a */

_ds_store_b64 v[vgprLocalWriteAddrA], v[vgprG2LA+0:vgprG2LA+0+1] offset:0 // lwoA_0_0_0_0 = (0*LSCA)*(MT0I+PAD) + (0*LSPA) = 0
_ds_store_b64 v[vgprLocalWriteAddrA], v[vgprG2LA+2:vgprG2LA+2+1] offset:520 // lwoA_0_0_1_0 = (0*LSCA)*(MT0I+PAD) + (1*LSPA) = 520
_ds_store_b64 v[vgprLocalWriteAddrA], v[vgprG2LA+4:vgprG2LA+4+1] offset:1040 // lwoA_0_0_2_0 = (0*LSCA)*(MT0I+PAD) + (2*LSPA) = 1040
_ds_store_b64 v[vgprLocalWriteAddrA], v[vgprG2LA+6:vgprG2LA+6+1] offset:1560 // lwoA_0_0_3_0 = (0*LSCA)*(MT0I+PAD) + (3*LSPA) = 1560
_ds_store_b64 v[vgprLocalWriteAddrA], v[vgprG2LA+8:vgprG2LA+8+1] offset:2080 // lwoA_0_0_4_0 = (0*LSCA)*(MT0I+PAD) + (4*LSPA) = 2080
_ds_store_b64 v[vgprLocalWriteAddrA], v[vgprG2LA+10:vgprG2LA+10+1] offset:2600 // lwoA_0_0_5_0 = (0*LSCA)*(MT0I+PAD) + (5*LSPA) = 2600
_ds_store_b64 v[vgprLocalWriteAddrA], v[vgprG2LA+12:vgprG2LA+12+1] offset:3120 // lwoA_0_0_6_0 = (0*LSCA)*(MT0I+PAD) + (6*LSPA) = 3120
_ds_store_b64 v[vgprLocalWriteAddrA], v[vgprG2LA+14:vgprG2LA+14+1] offset:3640 // lwoA_0_0_7_0 = (0*LSCA)*(MT0I+PAD) + (7*LSPA) = 3640
_ds_store_b64 v[vgprLocalWriteAddrA], v[vgprG2LA+16:vgprG2LA+16+1] offset:4160 // lwoA_0_0_8_0 = (0*LSCA)*(MT0I+PAD) + (8*LSPA) = 4160
_ds_store_b64 v[vgprLocalWriteAddrA], v[vgprG2LA+18:vgprG2LA+18+1] offset:4680 // lwoA_0_0_9_0 = (0*LSCA)*(MT0I+PAD) + (9*LSPA) = 4680
_ds_store_b64 v[vgprLocalWriteAddrA], v[vgprG2LA+20:vgprG2LA+20+1] offset:5200 // lwoA_0_0_10_0 = (0*LSCA)*(MT0I+PAD) + (10*LSPA) = 5200
_ds_store_b64 v[vgprLocalWriteAddrA], v[vgprG2LA+22:vgprG2LA+22+1] offset:5720 // lwoA_0_0_11_0 = (0*LSCA)*(MT0I+PAD) + (11*LSPA) = 5720
_ds_store_b64 v[vgprLocalWriteAddrA], v[vgprG2LA+24:vgprG2LA+24+1] offset:6240 // lwoA_0_0_12_0 = (0*LSCA)*(MT0I+PAD) + (12*LSPA) = 6240
_ds_store_b64 v[vgprLocalWriteAddrA], v[vgprG2LA+26:vgprG2LA+26+1] offset:6760 // lwoA_0_0_13_0 = (0*LSCA)*(MT0I+PAD) + (13*LSPA) = 6760
_ds_store_b64 v[vgprLocalWriteAddrA], v[vgprG2LA+28:vgprG2LA+28+1] offset:7280 // lwoA_0_0_14_0 = (0*LSCA)*(MT0I+PAD) + (14*LSPA) = 7280
_ds_store_b64 v[vgprLocalWriteAddrA], v[vgprG2LA+30:vgprG2LA+30+1] offset:7800 // lwoA_0_0_15_0 = (0*LSCA)*(MT0I+PAD) + (15*LSPA) = 7800


/* local write b */


s_waitcnt lgkmcnt(0)                               // lgkmcnt=0 vmcnt=-15wait for local write

// Skip barrier: NumThreads=64


/* local read reset offsets a */


	;; [unrolled: 1-line block ×3, first 2 shown]
/* local read reset offsets b */



/* local read init pointers a */


/* localReadInitPointers */


/* local read init pointers b */


	;; [unrolled: 1-line block ×3, first 2 shown]
/* tail loop: macs */

TailLoopBeginL_6:


/* tail loop unroll iter 0 */


/* local read a */

_ds_load_b64 v[vgprValuA_X0_I0+0:vgprValuA_X0_I0+0+1], v[vgprLocalReadAddrA] offset:0 // L -> Reg lro=0 swapByteOffset=0 ti=16 vIdx=0 rIdx=0 oIdx=0 buffer=0 iui=0


/* local read b */


	;; [unrolled: 1-line block ×3, first 2 shown]
/* local read inc a */

s_mov_b32 s10, 0x20                                // inc
_v_add_co_u32 v[vgprLocalReadAddrA], vcc, s10, v[vgprLocalReadAddrA] // lrA += 32 (LSU*bpe)


/* local read inc b */


s_waitcnt lgkmcnt(0)                               // lgkmcnt=0 vmcnt=-14wait for local read


	;; [unrolled: 1-line block ×3, first 2 shown]
/* tail loop mfma iter 0: numReadsIterCoalescedA=1, numReadsIterCoalescedB=1 */
v_and_b32 v172, 63, v[vgprSerial]                  // v172 = v[vgprSerial] % 64
v_lshrrev_b32 v172, 4, v172                        // v172 = v172 / 16
                                                   // v172 = v172 * 1 (multiplier is 1, do nothing)
v_cmp_ge_i32 s[36:37], v172, s[sgprLoopCounterL]   // check K index >= Size L
v_cndmask_b32 v[vgprValuA_X0_I0+0+0+0+0], v[vgprValuA_X0_I0+0+0+0+0], 0x0, s[36:37] // set 0 if K_idx >= sizeL
v_cndmask_b32 v[vgprValuA_X0_I0+0+0+0+1], v[vgprValuA_X0_I0+0+0+0+1], 0x0, s[36:37] // set 0 if K_idx >= sizeL
s_nop 1
v_mfma_f64_16x16x4_f64 v[0+0:7+0], v[vgprG2LB+0+0:vgprG2LB+0+0+1], v[vgprValuA_X0_I0+0+0+0:vgprValuA_X0_I0+0+0+0+1], v[0:7]


/* closeLoop loopL finalLoop=0 tailLoop=1 */
s_sub_i32 s[sgprLoopCounterL], s[sgprLoopCounterL], 0x4 // dec counterL (tailLoop)
s_add_u32 s[sgprOrigLoopCounter], s[sgprOrigLoopCounter], 0x4 // inc counterL
s_cmp_le_i32 s[sgprLoopCounterL], 0x0              // counterL<=0
s_cbranch_scc1 TailLoopEndL_7                      // exit LoopL


/* tail loop unroll iter 1 */


/* local read a */

_ds_load_b64 v[vgprValuA_X1_I0+0:vgprValuA_X1_I0+0+1], v[vgprLocalReadAddrA] offset:0 // L -> Reg lro=0 swapByteOffset=0 ti=16 vIdx=0 rIdx=0 oIdx=0 buffer=1 iui=0


/* local read b */


	;; [unrolled: 1-line block ×3, first 2 shown]
/* local read inc a */

s_mov_b32 s10, 0x20                                // inc
_v_add_co_u32 v[vgprLocalReadAddrA], vcc, s10, v[vgprLocalReadAddrA] // lrA += 32 (LSU*bpe)


/* local read inc b */


s_waitcnt lgkmcnt(0)                               // lgkmcnt=0 vmcnt=-14wait for local read


	;; [unrolled: 1-line block ×3, first 2 shown]
/* tail loop mfma iter 1: numReadsIterCoalescedA=1, numReadsIterCoalescedB=1 */
v_and_b32 v172, 63, v[vgprSerial]                  // v172 = v[vgprSerial] % 64
v_lshrrev_b32 v172, 4, v172                        // v172 = v172 / 16
                                                   // v172 = v172 * 1 (multiplier is 1, do nothing)
v_cmp_ge_i32 s[36:37], v172, s[sgprLoopCounterL]   // check K index >= Size L
v_cndmask_b32 v[vgprValuA_X1_I0+0+0+0+0], v[vgprValuA_X1_I0+0+0+0+0], 0x0, s[36:37] // set 0 if K_idx >= sizeL
v_cndmask_b32 v[vgprValuA_X1_I0+0+0+0+1], v[vgprValuA_X1_I0+0+0+0+1], 0x0, s[36:37] // set 0 if K_idx >= sizeL
s_nop 1
v_mfma_f64_16x16x4_f64 v[0+0:7+0], v[vgprG2LB+2+0:vgprG2LB+2+0+1], v[vgprValuA_X1_I0+0+0+0:vgprValuA_X1_I0+0+0+0+1], v[0:7]


/* closeLoop loopL finalLoop=0 tailLoop=1 */
s_sub_i32 s[sgprLoopCounterL], s[sgprLoopCounterL], 0x4 // dec counterL (tailLoop)
s_add_u32 s[sgprOrigLoopCounter], s[sgprOrigLoopCounter], 0x4 // inc counterL
s_cmp_le_i32 s[sgprLoopCounterL], 0x0              // counterL<=0
s_cbranch_scc1 TailLoopEndL_7                      // exit LoopL


/* tail loop unroll iter 2 */


/* local read a */

_ds_load_b64 v[vgprValuA_X2_I0+0:vgprValuA_X2_I0+0+1], v[vgprLocalReadAddrA] offset:0 // L -> Reg lro=0 swapByteOffset=0 ti=16 vIdx=0 rIdx=0 oIdx=0 buffer=2 iui=0


/* local read b */


	;; [unrolled: 1-line block ×3, first 2 shown]
/* local read inc a */

s_mov_b32 s10, 0x20                                // inc
_v_add_co_u32 v[vgprLocalReadAddrA], vcc, s10, v[vgprLocalReadAddrA] // lrA += 32 (LSU*bpe)


/* local read inc b */


s_waitcnt lgkmcnt(0)                               // lgkmcnt=0 vmcnt=-14wait for local read


	;; [unrolled: 1-line block ×3, first 2 shown]
/* tail loop mfma iter 2: numReadsIterCoalescedA=1, numReadsIterCoalescedB=1 */
v_and_b32 v172, 63, v[vgprSerial]                  // v172 = v[vgprSerial] % 64
v_lshrrev_b32 v172, 4, v172                        // v172 = v172 / 16
                                                   // v172 = v172 * 1 (multiplier is 1, do nothing)
v_cmp_ge_i32 s[36:37], v172, s[sgprLoopCounterL]   // check K index >= Size L
v_cndmask_b32 v[vgprValuA_X2_I0+0+0+0+0], v[vgprValuA_X2_I0+0+0+0+0], 0x0, s[36:37] // set 0 if K_idx >= sizeL
v_cndmask_b32 v[vgprValuA_X2_I0+0+0+0+1], v[vgprValuA_X2_I0+0+0+0+1], 0x0, s[36:37] // set 0 if K_idx >= sizeL
s_nop 1
v_mfma_f64_16x16x4_f64 v[0+0:7+0], v[vgprG2LB+4+0:vgprG2LB+4+0+1], v[vgprValuA_X2_I0+0+0+0:vgprValuA_X2_I0+0+0+0+1], v[0:7]


/* closeLoop loopL finalLoop=0 tailLoop=1 */
s_sub_i32 s[sgprLoopCounterL], s[sgprLoopCounterL], 0x4 // dec counterL (tailLoop)
s_add_u32 s[sgprOrigLoopCounter], s[sgprOrigLoopCounter], 0x4 // inc counterL
s_cmp_le_i32 s[sgprLoopCounterL], 0x0              // counterL<=0
s_cbranch_scc1 TailLoopEndL_7                      // exit LoopL


/* tail loop unroll iter 3 */


/* local read a */

_ds_load_b64 v[vgprValuA_X3_I0+0:vgprValuA_X3_I0+0+1], v[vgprLocalReadAddrA] offset:0 // L -> Reg lro=0 swapByteOffset=0 ti=16 vIdx=0 rIdx=0 oIdx=0 buffer=3 iui=0


/* local read b */


	;; [unrolled: 1-line block ×3, first 2 shown]
/* local read inc a */

s_mov_b32 s10, 0x20                                // inc
_v_add_co_u32 v[vgprLocalReadAddrA], vcc, s10, v[vgprLocalReadAddrA] // lrA += 32 (LSU*bpe)


/* local read inc b */


s_waitcnt lgkmcnt(0)                               // lgkmcnt=0 vmcnt=-14wait for local read


	;; [unrolled: 1-line block ×3, first 2 shown]
/* tail loop mfma iter 3: numReadsIterCoalescedA=1, numReadsIterCoalescedB=1 */
v_and_b32 v172, 63, v[vgprSerial]                  // v172 = v[vgprSerial] % 64
v_lshrrev_b32 v172, 4, v172                        // v172 = v172 / 16
                                                   // v172 = v172 * 1 (multiplier is 1, do nothing)
v_cmp_ge_i32 s[36:37], v172, s[sgprLoopCounterL]   // check K index >= Size L
v_cndmask_b32 v[vgprValuA_X3_I0+0+0+0+0], v[vgprValuA_X3_I0+0+0+0+0], 0x0, s[36:37] // set 0 if K_idx >= sizeL
v_cndmask_b32 v[vgprValuA_X3_I0+0+0+0+1], v[vgprValuA_X3_I0+0+0+0+1], 0x0, s[36:37] // set 0 if K_idx >= sizeL
s_nop 1
v_mfma_f64_16x16x4_f64 v[0+0:7+0], v[vgprG2LB+6+0:vgprG2LB+6+0+1], v[vgprValuA_X3_I0+0+0+0:vgprValuA_X3_I0+0+0+0+1], v[0:7]


/* closeLoop loopL finalLoop=0 tailLoop=1 */
s_sub_i32 s[sgprLoopCounterL], s[sgprLoopCounterL], 0x4 // dec counterL (tailLoop)
s_add_u32 s[sgprOrigLoopCounter], s[sgprOrigLoopCounter], 0x4 // inc counterL
s_cmp_le_i32 s[sgprLoopCounterL], 0x0              // counterL<=0
s_cbranch_scc1 TailLoopEndL_7                      // exit LoopL


/* tail loop unroll iter 4 */


/* local read a */

_ds_load_b64 v[vgprValuA_X4_I0+0:vgprValuA_X4_I0+0+1], v[vgprLocalReadAddrA] offset:0 // L -> Reg lro=0 swapByteOffset=0 ti=16 vIdx=0 rIdx=0 oIdx=0 buffer=4 iui=0


/* local read b */


	;; [unrolled: 1-line block ×3, first 2 shown]
/* local read inc a */

s_mov_b32 s10, 0x20                                // inc
_v_add_co_u32 v[vgprLocalReadAddrA], vcc, s10, v[vgprLocalReadAddrA] // lrA += 32 (LSU*bpe)


/* local read inc b */


s_waitcnt lgkmcnt(0)                               // lgkmcnt=0 vmcnt=-14wait for local read


	;; [unrolled: 1-line block ×3, first 2 shown]
/* tail loop mfma iter 4: numReadsIterCoalescedA=1, numReadsIterCoalescedB=1 */
v_and_b32 v172, 63, v[vgprSerial]                  // v172 = v[vgprSerial] % 64
v_lshrrev_b32 v172, 4, v172                        // v172 = v172 / 16
                                                   // v172 = v172 * 1 (multiplier is 1, do nothing)
v_cmp_ge_i32 s[36:37], v172, s[sgprLoopCounterL]   // check K index >= Size L
v_cndmask_b32 v[vgprValuA_X4_I0+0+0+0+0], v[vgprValuA_X4_I0+0+0+0+0], 0x0, s[36:37] // set 0 if K_idx >= sizeL
v_cndmask_b32 v[vgprValuA_X4_I0+0+0+0+1], v[vgprValuA_X4_I0+0+0+0+1], 0x0, s[36:37] // set 0 if K_idx >= sizeL
s_nop 1
v_mfma_f64_16x16x4_f64 v[0+0:7+0], v[vgprG2LB+8+0:vgprG2LB+8+0+1], v[vgprValuA_X4_I0+0+0+0:vgprValuA_X4_I0+0+0+0+1], v[0:7]


/* closeLoop loopL finalLoop=0 tailLoop=1 */
s_sub_i32 s[sgprLoopCounterL], s[sgprLoopCounterL], 0x4 // dec counterL (tailLoop)
s_add_u32 s[sgprOrigLoopCounter], s[sgprOrigLoopCounter], 0x4 // inc counterL
s_cmp_le_i32 s[sgprLoopCounterL], 0x0              // counterL<=0
s_cbranch_scc1 TailLoopEndL_7                      // exit LoopL


/* tail loop unroll iter 5 */


/* local read a */

_ds_load_b64 v[vgprValuA_X5_I0+0:vgprValuA_X5_I0+0+1], v[vgprLocalReadAddrA] offset:0 // L -> Reg lro=0 swapByteOffset=0 ti=16 vIdx=0 rIdx=0 oIdx=0 buffer=5 iui=0


/* local read b */


	;; [unrolled: 1-line block ×3, first 2 shown]
/* local read inc a */

s_mov_b32 s10, 0x20                                // inc
_v_add_co_u32 v[vgprLocalReadAddrA], vcc, s10, v[vgprLocalReadAddrA] // lrA += 32 (LSU*bpe)


/* local read inc b */


s_waitcnt lgkmcnt(0)                               // lgkmcnt=0 vmcnt=-14wait for local read



/* tail loop mfma iter 5: numReadsIterCoalescedA=1, numReadsIterCoalescedB=1 */
v_and_b32 v172, 63, v[vgprSerial]                  // v172 = v[vgprSerial] % 64
v_lshrrev_b32 v172, 4, v172                        // v172 = v172 / 16
                                                   // v172 = v172 * 1 (multiplier is 1, do nothing)
v_cmp_ge_i32 s[36:37], v172, s[sgprLoopCounterL]   // check K index >= Size L
v_cndmask_b32 v[vgprValuA_X5_I0+0+0+0+0], v[vgprValuA_X5_I0+0+0+0+0], 0x0, s[36:37] // set 0 if K_idx >= sizeL
v_cndmask_b32 v[vgprValuA_X5_I0+0+0+0+1], v[vgprValuA_X5_I0+0+0+0+1], 0x0, s[36:37] // set 0 if K_idx >= sizeL
s_nop 1
v_mfma_f64_16x16x4_f64 v[0+0:7+0], v[vgprG2LB+10+0:vgprG2LB+10+0+1], v[vgprValuA_X5_I0+0+0+0:vgprValuA_X5_I0+0+0+0+1], v[0:7]


/* closeLoop loopL finalLoop=0 tailLoop=1 */
s_sub_i32 s[sgprLoopCounterL], s[sgprLoopCounterL], 0x4 // dec counterL (tailLoop)
s_add_u32 s[sgprOrigLoopCounter], s[sgprOrigLoopCounter], 0x4 // inc counterL
s_cmp_le_i32 s[sgprLoopCounterL], 0x0              // counterL<=0
s_cbranch_scc1 TailLoopEndL_7                      // exit LoopL


/* tail loop unroll iter 6 */


/* local read a */

_ds_load_b64 v[vgprValuA_X6_I0+0:vgprValuA_X6_I0+0+1], v[vgprLocalReadAddrA] offset:0 // L -> Reg lro=0 swapByteOffset=0 ti=16 vIdx=0 rIdx=0 oIdx=0 buffer=6 iui=0


/* local read b */


	;; [unrolled: 1-line block ×3, first 2 shown]
/* local read inc a */

s_mov_b32 s10, 0x20                                // inc
_v_add_co_u32 v[vgprLocalReadAddrA], vcc, s10, v[vgprLocalReadAddrA] // lrA += 32 (LSU*bpe)


/* local read inc b */


s_waitcnt lgkmcnt(0)                               // lgkmcnt=0 vmcnt=-14wait for local read


	;; [unrolled: 1-line block ×3, first 2 shown]
/* tail loop mfma iter 6: numReadsIterCoalescedA=1, numReadsIterCoalescedB=1 */
v_and_b32 v172, 63, v[vgprSerial]                  // v172 = v[vgprSerial] % 64
v_lshrrev_b32 v172, 4, v172                        // v172 = v172 / 16
                                                   // v172 = v172 * 1 (multiplier is 1, do nothing)
v_cmp_ge_i32 s[36:37], v172, s[sgprLoopCounterL]   // check K index >= Size L
v_cndmask_b32 v[vgprValuA_X6_I0+0+0+0+0], v[vgprValuA_X6_I0+0+0+0+0], 0x0, s[36:37] // set 0 if K_idx >= sizeL
v_cndmask_b32 v[vgprValuA_X6_I0+0+0+0+1], v[vgprValuA_X6_I0+0+0+0+1], 0x0, s[36:37] // set 0 if K_idx >= sizeL
s_nop 1
v_mfma_f64_16x16x4_f64 v[0+0:7+0], v[vgprG2LB+12+0:vgprG2LB+12+0+1], v[vgprValuA_X6_I0+0+0+0:vgprValuA_X6_I0+0+0+0+1], v[0:7]


/* closeLoop loopL finalLoop=0 tailLoop=1 */
s_sub_i32 s[sgprLoopCounterL], s[sgprLoopCounterL], 0x4 // dec counterL (tailLoop)
s_add_u32 s[sgprOrigLoopCounter], s[sgprOrigLoopCounter], 0x4 // inc counterL
s_cmp_le_i32 s[sgprLoopCounterL], 0x0              // counterL<=0
s_cbranch_scc1 TailLoopEndL_7                      // exit LoopL


/* tail loop unroll iter 7 */


/* local read a */

_ds_load_b64 v[vgprValuA_X7_I0+0:vgprValuA_X7_I0+0+1], v[vgprLocalReadAddrA] offset:0 // L -> Reg lro=0 swapByteOffset=0 ti=16 vIdx=0 rIdx=0 oIdx=0 buffer=7 iui=0


/* local read b */


	;; [unrolled: 1-line block ×3, first 2 shown]
/* local read inc a */

s_mov_b32 s10, 0x20                                // inc
_v_add_co_u32 v[vgprLocalReadAddrA], vcc, s10, v[vgprLocalReadAddrA] // lrA += 32 (LSU*bpe)


/* local read inc b */


s_waitcnt lgkmcnt(0)                               // lgkmcnt=0 vmcnt=-14wait for local read


	;; [unrolled: 1-line block ×3, first 2 shown]
/* tail loop mfma iter 7: numReadsIterCoalescedA=1, numReadsIterCoalescedB=1 */
v_and_b32 v172, 63, v[vgprSerial]                  // v172 = v[vgprSerial] % 64
v_lshrrev_b32 v172, 4, v172                        // v172 = v172 / 16
                                                   // v172 = v172 * 1 (multiplier is 1, do nothing)
v_cmp_ge_i32 s[36:37], v172, s[sgprLoopCounterL]   // check K index >= Size L
v_cndmask_b32 v[vgprValuA_X7_I0+0+0+0+0], v[vgprValuA_X7_I0+0+0+0+0], 0x0, s[36:37] // set 0 if K_idx >= sizeL
v_cndmask_b32 v[vgprValuA_X7_I0+0+0+0+1], v[vgprValuA_X7_I0+0+0+0+1], 0x0, s[36:37] // set 0 if K_idx >= sizeL
s_nop 1
v_mfma_f64_16x16x4_f64 v[0+0:7+0], v[vgprG2LB+14+0:vgprG2LB+14+0+1], v[vgprValuA_X7_I0+0+0+0:vgprValuA_X7_I0+0+0+0+1], v[0:7]


/* closeLoop loopL finalLoop=0 tailLoop=1 */
s_sub_i32 s[sgprLoopCounterL], s[sgprLoopCounterL], 0x4 // dec counterL (tailLoop)
s_add_u32 s[sgprOrigLoopCounter], s[sgprOrigLoopCounter], 0x4 // inc counterL
s_cmp_le_i32 s[sgprLoopCounterL], 0x0              // counterL<=0
s_cbranch_scc1 TailLoopEndL_7                      // exit LoopL


/* tail loop unroll iter 8 */


/* local read a */

_ds_load_b64 v[vgprValuA_X8_I0+0:vgprValuA_X8_I0+0+1], v[vgprLocalReadAddrA] offset:0 // L -> Reg lro=0 swapByteOffset=0 ti=16 vIdx=0 rIdx=0 oIdx=0 buffer=8 iui=0


/* local read b */



/* local read inc a */

s_mov_b32 s10, 0x20                                // inc
_v_add_co_u32 v[vgprLocalReadAddrA], vcc, s10, v[vgprLocalReadAddrA] // lrA += 32 (LSU*bpe)


/* local read inc b */


s_waitcnt lgkmcnt(0)                               // lgkmcnt=0 vmcnt=-14wait for local read


	;; [unrolled: 1-line block ×3, first 2 shown]
/* tail loop mfma iter 8: numReadsIterCoalescedA=1, numReadsIterCoalescedB=1 */
v_and_b32 v172, 63, v[vgprSerial]                  // v172 = v[vgprSerial] % 64
v_lshrrev_b32 v172, 4, v172                        // v172 = v172 / 16
                                                   // v172 = v172 * 1 (multiplier is 1, do nothing)
v_cmp_ge_i32 s[36:37], v172, s[sgprLoopCounterL]   // check K index >= Size L
v_cndmask_b32 v[vgprValuA_X8_I0+0+0+0+0], v[vgprValuA_X8_I0+0+0+0+0], 0x0, s[36:37] // set 0 if K_idx >= sizeL
v_cndmask_b32 v[vgprValuA_X8_I0+0+0+0+1], v[vgprValuA_X8_I0+0+0+0+1], 0x0, s[36:37] // set 0 if K_idx >= sizeL
s_nop 1
v_mfma_f64_16x16x4_f64 v[0+0:7+0], v[vgprG2LB+16+0:vgprG2LB+16+0+1], v[vgprValuA_X8_I0+0+0+0:vgprValuA_X8_I0+0+0+0+1], v[0:7]


/* closeLoop loopL finalLoop=0 tailLoop=1 */
s_sub_i32 s[sgprLoopCounterL], s[sgprLoopCounterL], 0x4 // dec counterL (tailLoop)
s_add_u32 s[sgprOrigLoopCounter], s[sgprOrigLoopCounter], 0x4 // inc counterL
s_cmp_le_i32 s[sgprLoopCounterL], 0x0              // counterL<=0
s_cbranch_scc1 TailLoopEndL_7                      // exit LoopL


/* tail loop unroll iter 9 */


/* local read a */

_ds_load_b64 v[vgprValuA_X9_I0+0:vgprValuA_X9_I0+0+1], v[vgprLocalReadAddrA] offset:0 // L -> Reg lro=0 swapByteOffset=0 ti=16 vIdx=0 rIdx=0 oIdx=0 buffer=9 iui=0


/* local read b */


	;; [unrolled: 1-line block ×3, first 2 shown]
/* local read inc a */

s_mov_b32 s10, 0x20                                // inc
_v_add_co_u32 v[vgprLocalReadAddrA], vcc, s10, v[vgprLocalReadAddrA] // lrA += 32 (LSU*bpe)


/* local read inc b */


s_waitcnt lgkmcnt(0)                               // lgkmcnt=0 vmcnt=-14wait for local read


	;; [unrolled: 1-line block ×3, first 2 shown]
/* tail loop mfma iter 9: numReadsIterCoalescedA=1, numReadsIterCoalescedB=1 */
v_and_b32 v172, 63, v[vgprSerial]                  // v172 = v[vgprSerial] % 64
v_lshrrev_b32 v172, 4, v172                        // v172 = v172 / 16
                                                   // v172 = v172 * 1 (multiplier is 1, do nothing)
v_cmp_ge_i32 s[36:37], v172, s[sgprLoopCounterL]   // check K index >= Size L
v_cndmask_b32 v[vgprValuA_X9_I0+0+0+0+0], v[vgprValuA_X9_I0+0+0+0+0], 0x0, s[36:37] // set 0 if K_idx >= sizeL
v_cndmask_b32 v[vgprValuA_X9_I0+0+0+0+1], v[vgprValuA_X9_I0+0+0+0+1], 0x0, s[36:37] // set 0 if K_idx >= sizeL
s_nop 1
v_mfma_f64_16x16x4_f64 v[0+0:7+0], v[vgprG2LB+18+0:vgprG2LB+18+0+1], v[vgprValuA_X9_I0+0+0+0:vgprValuA_X9_I0+0+0+0+1], v[0:7]


/* closeLoop loopL finalLoop=0 tailLoop=1 */
s_sub_i32 s[sgprLoopCounterL], s[sgprLoopCounterL], 0x4 // dec counterL (tailLoop)
s_add_u32 s[sgprOrigLoopCounter], s[sgprOrigLoopCounter], 0x4 // inc counterL
s_cmp_le_i32 s[sgprLoopCounterL], 0x0              // counterL<=0
s_cbranch_scc1 TailLoopEndL_7                      // exit LoopL


/* tail loop unroll iter 10 */


/* local read a */

_ds_load_b64 v[vgprValuA_X10_I0+0:vgprValuA_X10_I0+0+1], v[vgprLocalReadAddrA] offset:0 // L -> Reg lro=0 swapByteOffset=0 ti=16 vIdx=0 rIdx=0 oIdx=0 buffer=10 iui=0


/* local read b */


	;; [unrolled: 1-line block ×3, first 2 shown]
/* local read inc a */

s_mov_b32 s10, 0x20                                // inc
_v_add_co_u32 v[vgprLocalReadAddrA], vcc, s10, v[vgprLocalReadAddrA] // lrA += 32 (LSU*bpe)


/* local read inc b */


s_waitcnt lgkmcnt(0)                               // lgkmcnt=0 vmcnt=-14wait for local read


	;; [unrolled: 1-line block ×3, first 2 shown]
/* tail loop mfma iter 10: numReadsIterCoalescedA=1, numReadsIterCoalescedB=1 */
v_and_b32 v172, 63, v[vgprSerial]                  // v172 = v[vgprSerial] % 64
v_lshrrev_b32 v172, 4, v172                        // v172 = v172 / 16
                                                   // v172 = v172 * 1 (multiplier is 1, do nothing)
v_cmp_ge_i32 s[36:37], v172, s[sgprLoopCounterL]   // check K index >= Size L
v_cndmask_b32 v[vgprValuA_X10_I0+0+0+0+0], v[vgprValuA_X10_I0+0+0+0+0], 0x0, s[36:37] // set 0 if K_idx >= sizeL
v_cndmask_b32 v[vgprValuA_X10_I0+0+0+0+1], v[vgprValuA_X10_I0+0+0+0+1], 0x0, s[36:37] // set 0 if K_idx >= sizeL
s_nop 1
v_mfma_f64_16x16x4_f64 v[0+0:7+0], v[vgprG2LB+20+0:vgprG2LB+20+0+1], v[vgprValuA_X10_I0+0+0+0:vgprValuA_X10_I0+0+0+0+1], v[0:7]


/* closeLoop loopL finalLoop=0 tailLoop=1 */
s_sub_i32 s[sgprLoopCounterL], s[sgprLoopCounterL], 0x4 // dec counterL (tailLoop)
s_add_u32 s[sgprOrigLoopCounter], s[sgprOrigLoopCounter], 0x4 // inc counterL
s_cmp_le_i32 s[sgprLoopCounterL], 0x0              // counterL<=0
s_cbranch_scc1 TailLoopEndL_7                      // exit LoopL


/* tail loop unroll iter 11 */


/* local read a */

_ds_load_b64 v[vgprValuA_X11_I0+0:vgprValuA_X11_I0+0+1], v[vgprLocalReadAddrA] offset:0 // L -> Reg lro=0 swapByteOffset=0 ti=16 vIdx=0 rIdx=0 oIdx=0 buffer=11 iui=0


/* local read b */


	;; [unrolled: 1-line block ×3, first 2 shown]
/* local read inc a */

s_mov_b32 s10, 0x20                                // inc
_v_add_co_u32 v[vgprLocalReadAddrA], vcc, s10, v[vgprLocalReadAddrA] // lrA += 32 (LSU*bpe)


/* local read inc b */


s_waitcnt lgkmcnt(0)                               // lgkmcnt=0 vmcnt=-14wait for local read


	;; [unrolled: 1-line block ×3, first 2 shown]
/* tail loop mfma iter 11: numReadsIterCoalescedA=1, numReadsIterCoalescedB=1 */
v_and_b32 v172, 63, v[vgprSerial]                  // v172 = v[vgprSerial] % 64
v_lshrrev_b32 v172, 4, v172                        // v172 = v172 / 16
                                                   // v172 = v172 * 1 (multiplier is 1, do nothing)
v_cmp_ge_i32 s[36:37], v172, s[sgprLoopCounterL]   // check K index >= Size L
v_cndmask_b32 v[vgprValuA_X11_I0+0+0+0+0], v[vgprValuA_X11_I0+0+0+0+0], 0x0, s[36:37] // set 0 if K_idx >= sizeL
v_cndmask_b32 v[vgprValuA_X11_I0+0+0+0+1], v[vgprValuA_X11_I0+0+0+0+1], 0x0, s[36:37] // set 0 if K_idx >= sizeL
s_nop 1
v_mfma_f64_16x16x4_f64 v[0+0:7+0], v[vgprG2LB+22+0:vgprG2LB+22+0+1], v[vgprValuA_X11_I0+0+0+0:vgprValuA_X11_I0+0+0+0+1], v[0:7]


/* closeLoop loopL finalLoop=0 tailLoop=1 */
s_sub_i32 s[sgprLoopCounterL], s[sgprLoopCounterL], 0x4 // dec counterL (tailLoop)
s_add_u32 s[sgprOrigLoopCounter], s[sgprOrigLoopCounter], 0x4 // inc counterL
s_cmp_le_i32 s[sgprLoopCounterL], 0x0              // counterL<=0
s_cbranch_scc1 TailLoopEndL_7                      // exit LoopL


/* tail loop unroll iter 12 */


/* local read a */

_ds_load_b64 v[vgprValuA_X12_I0+0:vgprValuA_X12_I0+0+1], v[vgprLocalReadAddrA] offset:0 // L -> Reg lro=0 swapByteOffset=0 ti=16 vIdx=0 rIdx=0 oIdx=0 buffer=12 iui=0


/* local read b */



/* local read inc a */

s_mov_b32 s10, 0x20                                // inc
_v_add_co_u32 v[vgprLocalReadAddrA], vcc, s10, v[vgprLocalReadAddrA] // lrA += 32 (LSU*bpe)


/* local read inc b */


s_waitcnt lgkmcnt(0)                               // lgkmcnt=0 vmcnt=-14wait for local read


	;; [unrolled: 1-line block ×3, first 2 shown]
/* tail loop mfma iter 12: numReadsIterCoalescedA=1, numReadsIterCoalescedB=1 */
v_and_b32 v172, 63, v[vgprSerial]                  // v172 = v[vgprSerial] % 64
v_lshrrev_b32 v172, 4, v172                        // v172 = v172 / 16
                                                   // v172 = v172 * 1 (multiplier is 1, do nothing)
v_cmp_ge_i32 s[36:37], v172, s[sgprLoopCounterL]   // check K index >= Size L
v_cndmask_b32 v[vgprValuA_X12_I0+0+0+0+0], v[vgprValuA_X12_I0+0+0+0+0], 0x0, s[36:37] // set 0 if K_idx >= sizeL
v_cndmask_b32 v[vgprValuA_X12_I0+0+0+0+1], v[vgprValuA_X12_I0+0+0+0+1], 0x0, s[36:37] // set 0 if K_idx >= sizeL
s_nop 1
v_mfma_f64_16x16x4_f64 v[0+0:7+0], v[vgprG2LB+24+0:vgprG2LB+24+0+1], v[vgprValuA_X12_I0+0+0+0:vgprValuA_X12_I0+0+0+0+1], v[0:7]


/* closeLoop loopL finalLoop=0 tailLoop=1 */
s_sub_i32 s[sgprLoopCounterL], s[sgprLoopCounterL], 0x4 // dec counterL (tailLoop)
s_add_u32 s[sgprOrigLoopCounter], s[sgprOrigLoopCounter], 0x4 // inc counterL
s_cmp_le_i32 s[sgprLoopCounterL], 0x0              // counterL<=0
s_cbranch_scc1 TailLoopEndL_7                      // exit LoopL


/* tail loop unroll iter 13 */


/* local read a */

_ds_load_b64 v[vgprValuA_X13_I0+0:vgprValuA_X13_I0+0+1], v[vgprLocalReadAddrA] offset:0 // L -> Reg lro=0 swapByteOffset=0 ti=16 vIdx=0 rIdx=0 oIdx=0 buffer=13 iui=0


/* local read b */


	;; [unrolled: 1-line block ×3, first 2 shown]
/* local read inc a */

s_mov_b32 s10, 0x20                                // inc
_v_add_co_u32 v[vgprLocalReadAddrA], vcc, s10, v[vgprLocalReadAddrA] // lrA += 32 (LSU*bpe)


/* local read inc b */


s_waitcnt lgkmcnt(0)                               // lgkmcnt=0 vmcnt=-14wait for local read


	;; [unrolled: 1-line block ×3, first 2 shown]
/* tail loop mfma iter 13: numReadsIterCoalescedA=1, numReadsIterCoalescedB=1 */
v_and_b32 v172, 63, v[vgprSerial]                  // v172 = v[vgprSerial] % 64
v_lshrrev_b32 v172, 4, v172                        // v172 = v172 / 16
                                                   // v172 = v172 * 1 (multiplier is 1, do nothing)
v_cmp_ge_i32 s[36:37], v172, s[sgprLoopCounterL]   // check K index >= Size L
v_cndmask_b32 v[vgprValuA_X13_I0+0+0+0+0], v[vgprValuA_X13_I0+0+0+0+0], 0x0, s[36:37] // set 0 if K_idx >= sizeL
v_cndmask_b32 v[vgprValuA_X13_I0+0+0+0+1], v[vgprValuA_X13_I0+0+0+0+1], 0x0, s[36:37] // set 0 if K_idx >= sizeL
s_nop 1
v_mfma_f64_16x16x4_f64 v[0+0:7+0], v[vgprG2LB+26+0:vgprG2LB+26+0+1], v[vgprValuA_X13_I0+0+0+0:vgprValuA_X13_I0+0+0+0+1], v[0:7]


/* closeLoop loopL finalLoop=0 tailLoop=1 */
s_sub_i32 s[sgprLoopCounterL], s[sgprLoopCounterL], 0x4 // dec counterL (tailLoop)
s_add_u32 s[sgprOrigLoopCounter], s[sgprOrigLoopCounter], 0x4 // inc counterL
s_cmp_le_i32 s[sgprLoopCounterL], 0x0              // counterL<=0
s_cbranch_scc1 TailLoopEndL_7                      // exit LoopL


/* tail loop unroll iter 14 */


/* local read a */

_ds_load_b64 v[vgprValuA_X14_I0+0:vgprValuA_X14_I0+0+1], v[vgprLocalReadAddrA] offset:0 // L -> Reg lro=0 swapByteOffset=0 ti=16 vIdx=0 rIdx=0 oIdx=0 buffer=14 iui=0


/* local read b */


	;; [unrolled: 1-line block ×3, first 2 shown]
/* local read inc a */

s_mov_b32 s10, 0x20                                // inc
_v_add_co_u32 v[vgprLocalReadAddrA], vcc, s10, v[vgprLocalReadAddrA] // lrA += 32 (LSU*bpe)


/* local read inc b */


s_waitcnt lgkmcnt(0)                               // lgkmcnt=0 vmcnt=-14wait for local read


	;; [unrolled: 1-line block ×3, first 2 shown]
/* tail loop mfma iter 14: numReadsIterCoalescedA=1, numReadsIterCoalescedB=1 */
v_and_b32 v172, 63, v[vgprSerial]                  // v172 = v[vgprSerial] % 64
v_lshrrev_b32 v172, 4, v172                        // v172 = v172 / 16
                                                   // v172 = v172 * 1 (multiplier is 1, do nothing)
v_cmp_ge_i32 s[36:37], v172, s[sgprLoopCounterL]   // check K index >= Size L
v_cndmask_b32 v[vgprValuA_X14_I0+0+0+0+0], v[vgprValuA_X14_I0+0+0+0+0], 0x0, s[36:37] // set 0 if K_idx >= sizeL
v_cndmask_b32 v[vgprValuA_X14_I0+0+0+0+1], v[vgprValuA_X14_I0+0+0+0+1], 0x0, s[36:37] // set 0 if K_idx >= sizeL
s_nop 1
v_mfma_f64_16x16x4_f64 v[0+0:7+0], v[vgprG2LB+28+0:vgprG2LB+28+0+1], v[vgprValuA_X14_I0+0+0+0:vgprValuA_X14_I0+0+0+0+1], v[0:7]


/* closeLoop loopL finalLoop=0 tailLoop=1 */
s_sub_i32 s[sgprLoopCounterL], s[sgprLoopCounterL], 0x4 // dec counterL (tailLoop)
s_add_u32 s[sgprOrigLoopCounter], s[sgprOrigLoopCounter], 0x4 // inc counterL
s_cmp_le_i32 s[sgprLoopCounterL], 0x0              // counterL<=0
s_cbranch_scc1 TailLoopEndL_7                      // exit LoopL


/* tail loop unroll iter 15 */


/* local read a */

_ds_load_b64 v[vgprValuA_X15_I0+0:vgprValuA_X15_I0+0+1], v[vgprLocalReadAddrA] offset:0 // L -> Reg lro=0 swapByteOffset=0 ti=16 vIdx=0 rIdx=0 oIdx=0 buffer=15 iui=0


/* local read b */


	;; [unrolled: 1-line block ×3, first 2 shown]
/* local read inc a */

s_mov_b32 s10, 0x28                                // inc
_v_add_co_u32 v[vgprLocalReadAddrA], vcc, s10, v[vgprLocalReadAddrA] // lrA += 40 (LSU*bpe)


/* local read inc b */


s_waitcnt lgkmcnt(0)                               // lgkmcnt=0 vmcnt=-14wait for local read


	;; [unrolled: 1-line block ×3, first 2 shown]
/* tail loop mfma iter 15: numReadsIterCoalescedA=1, numReadsIterCoalescedB=1 */
v_and_b32 v172, 63, v[vgprSerial]                  // v172 = v[vgprSerial] % 64
v_lshrrev_b32 v172, 4, v172                        // v172 = v172 / 16
                                                   // v172 = v172 * 1 (multiplier is 1, do nothing)
v_cmp_ge_i32 s[36:37], v172, s[sgprLoopCounterL]   // check K index >= Size L
v_cndmask_b32 v[vgprValuA_X15_I0+0+0+0+0], v[vgprValuA_X15_I0+0+0+0+0], 0x0, s[36:37] // set 0 if K_idx >= sizeL
v_cndmask_b32 v[vgprValuA_X15_I0+0+0+0+1], v[vgprValuA_X15_I0+0+0+0+1], 0x0, s[36:37] // set 0 if K_idx >= sizeL
s_nop 1
v_mfma_f64_16x16x4_f64 v[0+0:7+0], v[vgprG2LB+30+0:vgprG2LB+30+0+1], v[vgprValuA_X15_I0+0+0+0:vgprValuA_X15_I0+0+0+0+1], v[0:7]


/* closeLoop loopL finalLoop=1 tailLoop=1 */
s_sub_i32 s[sgprLoopCounterL], s[sgprLoopCounterL], 0x4 // dec counterL (tailLoop)
s_add_u32 s[sgprOrigLoopCounter], s[sgprOrigLoopCounter], 0x4 // inc counterL
s_cmp_le_i32 s[sgprLoopCounterL], 0x0              // counterL<=0
s_cbranch_scc0 TailLoopBeginL_6                    // restart LoopL
TailLoopEndL_7:

SkipTailLoopL_8:

Summation_End_23:
/* endSummation: add vgpr [8...170) to pool */

/* Mapping of Acc register -> C Vgpr register */

/* Rearrange MI out register -> C Vgpr register */


	;; [unrolled: 1-line block ×3, first 2 shown]
/* not-LocalSplitU: global write indices */

/* computeStoreVgprs */
v_lshrrev_b32 v12, 6, v[vgprSerial]                // v12 = v[vgprSerial] / 64
v_and_b32 v9, 63, v[vgprSerial]                    // v9 = v[vgprSerial] % 64
v_lshrrev_b32 v9, 4, v9                            // v9 = v9 / 16
                                                   // thread0 * continuous_output (multiplier is 1, do nothing)
v_lshrrev_b32 v13, 0, v12                          // v13 = v12 / 1
v_mul_lo_u32 v13, 0x10, v13                        // wave coordination offset 1
_v_add_lshl_u32 v9, v13, v9, 0                     // coordination 1 = vwb *(wave_id1 + tid1)
v_mul_lo_u32 v10, v9, s[sgprStrideC1J]             //  offset 1
v_mul_lo_u32 v11, v9, s[sgprStrideD1J]             //  offset 1
v_and_b32 v13, 0, v12                              // v13 = v12 % 1
v_and_b32 v8, 15, v[vgprSerial]                    // v8 = v[vgprSerial] % 16
_v_add_lshl_u32 v8, v13, v8, 0                     // coordination 0 = vwa *(wave_id0 + tid0)
s_mul_i32 s10, 16, s[sgprWorkGroup0]               // wgp0 * MT0
_v_add_u32 v8, s10, v8                             // coord 0 = (tid0/MI_m)*4 + waveG0*MIB_m + MT0*SG0
s_mul_i32 s10, 16, s[sgprWorkGroup1]               // wgp1 * MT1
_v_add_u32 v9, s10, v9                             // coord 1 = (tid0%MI_m) + waveG1*MIB_n + MT1*SG1


/* not-LocalSplitU: global write */

s_and_b32 s36, 15, s[sgprSizeI]                    // s36 = s[sgprSizeI] % 16
s_add_u32 s37, -0x1, s[sgprNumWorkGroups0]         // 
s_cmp_ge_u32 s[sgprWorkGroup0], s37                // wg0 >= nwg0-1 ?
s_cselect_b32 s36, s36, 0                          // set rMT0
s_cmpk_gt_u32 s36, 0x0                             // rMT0 > 0
s_cbranch_scc1 GW_B0_E1_29                         // jump if edges required
s_and_b32 s36, 15, s[sgprSizeJ]                    // s36 = s[sgprSizeJ] % 16
s_add_u32 s37, -0x1, s[sgprNumWorkGroups1]         // 
s_cmp_ge_u32 s[sgprWorkGroup1], s37                // wg1 >= nwg1-1
s_cselect_b32 s36, s36, 0                          // set rMT1
s_cmpk_gt_u32 s36, 0x0                             // rMT1 > 0
s_cbranch_scc1 GW_B0_E1_29                         // jump if edges required
GW_B0_E0_26:

/* edge=0, allocate 2 sgpr. perBatchTmpS=2 perBatchMaskS=0 perElementMaskS=0 elementsPerBatch=4 */
/* optSingleColVgpr=1 optSharedColVgpr=0 optSGPRUsage=BufferLoad_Mask optSrdIncForRow=1 */

/******************************************/
/* Global Write Alpha Batch #0 (d1,d0,vc1,vc0) = */
/*    (0,0,0,0:vw1); (1,0,0,0:vw1); (2,0,0,0:vw1); (3,0,0,0:vw1) */
/******************************************/

/* calc coords, apply mask, and issue loads (if necessary) */
/* (d1,vc1,d0,vc0)=(0,0,0,0) */
/* (d1,vc1,d0,vc0)=(1,0,0,0) */
/* (d1,vc1,d0,vc0)=(2,0,0,0) */
/* (d1,vc1,d0,vc0)=(3,0,0,0) */
_v_add_lshl_u32 v14, v11, v8, 0x3                  // optSingleColVgpr scaleToBpe: sharedAddrVgpr <- cinRowPtr + coord0, scaled by BPE. BSHERE:coord0=8, coord0Vgpr=8
v_mov_b32 v[vgprValuC+16], v[vgprValuC+0] // copy MI out reg to vreg[0]
v_mov_b32 v[vgprValuC+17], v[vgprValuC+1] // copy MI out reg to vreg[1]
	;; [unrolled: 1-line block ×8, first 2 shown]

/* rC *= alpha batchElements=[(0, 0, 0, 0), (1, 0, 0, 0), (2, 0, 0, 0), (3, 0, 0, 0)] */

/* apply mask, calc new C and issue writes */
_buffer_store_b64 v[16:17], v14, s[sgprSrdD:sgprSrdD+3], 0, offen, offset:0 // store D
s_mul_i32 s10, s[sgprStrideD1J], 32                // scale StrideD *= numRows(4) * bpe
s_add_u32  s[sgprSrdD+0], s[sgprSrdD+0], s10       // incToNextRow: gra SRD += inc(lower)
s_addc_u32  s[sgprSrdD+1], s[sgprSrdD+1], 0        // incToNextRow: gra SRD += inc(upper)
_buffer_store_b64 v[18:19], v14, s[sgprSrdD:sgprSrdD+3], 0, offen, offset:0 // store D
s_mul_i32 s10, s[sgprStrideD1J], 32                // scale StrideD *= numRows(4) * bpe
s_add_u32  s[sgprSrdD+0], s[sgprSrdD+0], s10       // incToNextRow: gra SRD += inc(lower)
s_addc_u32  s[sgprSrdD+1], s[sgprSrdD+1], 0        // incToNextRow: gra SRD += inc(upper)
	;; [unrolled: 4-line block ×3, first 2 shown]
_buffer_store_b64 v[22:23], v14, s[sgprSrdD:sgprSrdD+3], 0, offen, offset:0 // store D
s_nop 0                                            // 1 wait state required when next inst writes vgprs held by previous dwordx4 store inst
s_branch label_GW_End_31                           // jump to end
GW_B0_E1_29:

/* edge=1, allocate 6 sgpr. perBatchTmpS=4 perBatchMaskS=2 perElementMaskS=0 elementsPerBatch=4 */
/* optSingleColVgpr=0 optSharedColVgpr=0 optSGPRUsage=BufferLoad_Edge_Mask optSrdIncForRow=0 */

/******************************************/
/* Global Write Alpha Edge Batch #0 (d1,d0,vc1,vc0) = */
/*    (0,0,0,0:vw1); (1,0,0,0:vw1); (2,0,0,0:vw1); (3,0,0,0:vw1) */
/******************************************/

/* calc coords, apply mask, and issue loads (if necessary) */
/* (d1,vc1,d0,vc0)=(0,0,0,0) */
v_cmp_lt_u32 s[58:59], v8, s[sgprSizeI]            // coord0 < size0
v_cmp_lt_u32 s[62:63], v9, s[sgprSizeJ]            // coord1 < size1
s_and_b64 s[62:63], s[58:59], s[62:63]             // in0 && in1
_v_add_lshl_u32 v14, v11, v8, 0x3                  // scaleToBpe: accumulate d0 lower and *= bpe into Cin addr
v_cndmask_b32 v14, -1, v14, s[62:63]               // LDD clip if OOB. offset
/* (d1,vc1,d0,vc0)=(1,0,0,0) */
_v_add_co_u32 v9, vcc, v9, 4                       // coord1.1: coord1Vgpr += d1*sg1*VW + vc1

/* Fix for UseInitialStridesCD, emitAddressSetupCode */
s_mul_i32 s58, s[sgprStrideC1J], 4                 // scale stride
_v_add_u32 v10, v10, s58                           // ROWINC- Move cinRowPtr to next row
s_mul_i32 s58, s[sgprStrideD1J], 4                 // scale stride
_v_add_u32 v11, v11, s58                           // Move coutRowPtr to next row
v_cmp_lt_u32 s[58:59], v8, s[sgprSizeI]            // coord0 < size0
v_cmp_lt_u32 s[62:63], v9, s[sgprSizeJ]            // coord1 < size1
s_and_b64 s[62:63], s[58:59], s[62:63]             // in0 && in1
_v_add_lshl_u32 v15, v11, v8, 0x3                  // scaleToBpe: accumulate d0 lower and *= bpe into Cin addr
v_cndmask_b32 v15, -1, v15, s[62:63]               // LDD clip if OOB. offset
/* (d1,vc1,d0,vc0)=(2,0,0,0) */
_v_add_co_u32 v9, vcc, v9, 4                       // coord1.1: coord1Vgpr += d1*sg1*VW + vc1

/* Fix for UseInitialStridesCD, emitAddressSetupCode */
s_mul_i32 s58, s[sgprStrideC1J], 4                 // scale stride
_v_add_u32 v10, v10, s58                           // ROWINC- Move cinRowPtr to next row
s_mul_i32 s58, s[sgprStrideD1J], 4                 // scale stride
_v_add_u32 v11, v11, s58                           // Move coutRowPtr to next row
	;; [unrolled: 13-line block ×3, first 2 shown]
v_cmp_lt_u32 s[58:59], v8, s[sgprSizeI]            // coord0 < size0
v_cmp_lt_u32 s[62:63], v9, s[sgprSizeJ]            // coord1 < size1
s_and_b64 s[62:63], s[58:59], s[62:63]             // in0 && in1
_v_add_lshl_u32 v21, v11, v8, 0x3                  // scaleToBpe: accumulate d0 lower and *= bpe into Cin addr
v_cndmask_b32 v21, -1, v21, s[62:63]               // LDD clip if OOB. offset
v_mov_b32 v[vgprValuC+16], v[vgprValuC+0] // copy MI out reg to vreg[0]
v_mov_b32 v[vgprValuC+17], v[vgprValuC+1] // copy MI out reg to vreg[1]
v_mov_b32 v[vgprValuC+18], v[vgprValuC+2] // copy MI out reg to vreg[2]
v_mov_b32 v[vgprValuC+19], v[vgprValuC+3] // copy MI out reg to vreg[3]
v_mov_b32 v[vgprValuC+22], v[vgprValuC+4] // copy MI out reg to vreg[4]
v_mov_b32 v[vgprValuC+23], v[vgprValuC+5] // copy MI out reg to vreg[5]
v_mov_b32 v[vgprValuC+24], v[vgprValuC+6] // copy MI out reg to vreg[6]
v_mov_b32 v[vgprValuC+25], v[vgprValuC+7] // copy MI out reg to vreg[7]

/* rC *= alpha batchElements=[(0, 0, 0, 0), (1, 0, 0, 0), (2, 0, 0, 0), (3, 0, 0, 0)] */

/* apply mask, calc new C and issue writes */
_buffer_store_b64 v[16:17], v14, s[sgprSrdD:sgprSrdD+3], 0, offen, offset:0 // store D
_buffer_store_b64 v[18:19], v15, s[sgprSrdD:sgprSrdD+3], 0, offen, offset:0 // store D
	;; [unrolled: 1-line block ×4, first 2 shown]
s_nop 0                                            // 1 wait state required when next inst writes vgprs held by previous dwordx4 store inst
s_branch label_GW_End_31                           // jump to end
label_GW_End_31:

label_0036:  /// KernelEnd
s_endpgm                                           // Kernel End

